;; amdgpu-corpus repo=ROCm/rocFFT kind=compiled arch=gfx906 opt=O3
	.text
	.amdgcn_target "amdgcn-amd-amdhsa--gfx906"
	.amdhsa_code_object_version 6
	.protected	fft_rtc_fwd_len1768_factors_17_13_8_wgs_136_tpt_136_halfLds_sp_op_CI_CI_sbrr_dirReg ; -- Begin function fft_rtc_fwd_len1768_factors_17_13_8_wgs_136_tpt_136_halfLds_sp_op_CI_CI_sbrr_dirReg
	.globl	fft_rtc_fwd_len1768_factors_17_13_8_wgs_136_tpt_136_halfLds_sp_op_CI_CI_sbrr_dirReg
	.p2align	8
	.type	fft_rtc_fwd_len1768_factors_17_13_8_wgs_136_tpt_136_halfLds_sp_op_CI_CI_sbrr_dirReg,@function
fft_rtc_fwd_len1768_factors_17_13_8_wgs_136_tpt_136_halfLds_sp_op_CI_CI_sbrr_dirReg: ; @fft_rtc_fwd_len1768_factors_17_13_8_wgs_136_tpt_136_halfLds_sp_op_CI_CI_sbrr_dirReg
; %bb.0:
	s_load_dwordx4 s[16:19], s[4:5], 0x18
	s_load_dwordx4 s[8:11], s[4:5], 0x0
	;; [unrolled: 1-line block ×3, first 2 shown]
	v_mul_u32_u24_e32 v1, 0x1e2, v0
	v_mov_b32_e32 v7, 0
	s_waitcnt lgkmcnt(0)
	s_load_dwordx2 s[22:23], s[16:17], 0x0
	s_load_dwordx2 s[20:21], s[18:19], 0x0
	v_cmp_lt_u64_e64 s[0:1], s[10:11], 2
	v_mov_b32_e32 v5, 0
	v_add_u32_sdwa v9, s6, v1 dst_sel:DWORD dst_unused:UNUSED_PAD src0_sel:DWORD src1_sel:WORD_1
	v_mov_b32_e32 v10, v7
	s_and_b64 vcc, exec, s[0:1]
	v_mov_b32_e32 v6, 0
	s_cbranch_vccnz .LBB0_8
; %bb.1:
	s_load_dwordx2 s[0:1], s[4:5], 0x10
	s_add_u32 s2, s18, 8
	s_addc_u32 s3, s19, 0
	s_add_u32 s6, s16, 8
	s_addc_u32 s7, s17, 0
	v_mov_b32_e32 v5, 0
	s_waitcnt lgkmcnt(0)
	s_add_u32 s24, s0, 8
	v_mov_b32_e32 v6, 0
	v_mov_b32_e32 v1, v5
	s_addc_u32 s25, s1, 0
	s_mov_b64 s[26:27], 1
	v_mov_b32_e32 v2, v6
.LBB0_2:                                ; =>This Inner Loop Header: Depth=1
	s_load_dwordx2 s[28:29], s[24:25], 0x0
                                        ; implicit-def: $vgpr3_vgpr4
	s_waitcnt lgkmcnt(0)
	v_or_b32_e32 v8, s29, v10
	v_cmp_ne_u64_e32 vcc, 0, v[7:8]
	s_and_saveexec_b64 s[0:1], vcc
	s_xor_b64 s[30:31], exec, s[0:1]
	s_cbranch_execz .LBB0_4
; %bb.3:                                ;   in Loop: Header=BB0_2 Depth=1
	v_cvt_f32_u32_e32 v3, s28
	v_cvt_f32_u32_e32 v4, s29
	s_sub_u32 s0, 0, s28
	s_subb_u32 s1, 0, s29
	v_mac_f32_e32 v3, 0x4f800000, v4
	v_rcp_f32_e32 v3, v3
	v_mul_f32_e32 v3, 0x5f7ffffc, v3
	v_mul_f32_e32 v4, 0x2f800000, v3
	v_trunc_f32_e32 v4, v4
	v_mac_f32_e32 v3, 0xcf800000, v4
	v_cvt_u32_f32_e32 v4, v4
	v_cvt_u32_f32_e32 v3, v3
	v_mul_lo_u32 v8, s0, v4
	v_mul_hi_u32 v11, s0, v3
	v_mul_lo_u32 v13, s1, v3
	v_mul_lo_u32 v12, s0, v3
	v_add_u32_e32 v8, v11, v8
	v_add_u32_e32 v8, v8, v13
	v_mul_hi_u32 v11, v3, v12
	v_mul_lo_u32 v13, v3, v8
	v_mul_hi_u32 v15, v3, v8
	v_mul_hi_u32 v14, v4, v12
	v_mul_lo_u32 v12, v4, v12
	v_mul_hi_u32 v16, v4, v8
	v_add_co_u32_e32 v11, vcc, v11, v13
	v_addc_co_u32_e32 v13, vcc, 0, v15, vcc
	v_mul_lo_u32 v8, v4, v8
	v_add_co_u32_e32 v11, vcc, v11, v12
	v_addc_co_u32_e32 v11, vcc, v13, v14, vcc
	v_addc_co_u32_e32 v12, vcc, 0, v16, vcc
	v_add_co_u32_e32 v8, vcc, v11, v8
	v_addc_co_u32_e32 v11, vcc, 0, v12, vcc
	v_add_co_u32_e32 v3, vcc, v3, v8
	v_addc_co_u32_e32 v4, vcc, v4, v11, vcc
	v_mul_lo_u32 v8, s0, v4
	v_mul_hi_u32 v11, s0, v3
	v_mul_lo_u32 v12, s1, v3
	v_mul_lo_u32 v13, s0, v3
	v_add_u32_e32 v8, v11, v8
	v_add_u32_e32 v8, v8, v12
	v_mul_lo_u32 v14, v3, v8
	v_mul_hi_u32 v15, v3, v13
	v_mul_hi_u32 v16, v3, v8
	;; [unrolled: 1-line block ×3, first 2 shown]
	v_mul_lo_u32 v13, v4, v13
	v_mul_hi_u32 v11, v4, v8
	v_add_co_u32_e32 v14, vcc, v15, v14
	v_addc_co_u32_e32 v15, vcc, 0, v16, vcc
	v_mul_lo_u32 v8, v4, v8
	v_add_co_u32_e32 v13, vcc, v14, v13
	v_addc_co_u32_e32 v12, vcc, v15, v12, vcc
	v_addc_co_u32_e32 v11, vcc, 0, v11, vcc
	v_add_co_u32_e32 v8, vcc, v12, v8
	v_addc_co_u32_e32 v11, vcc, 0, v11, vcc
	v_add_co_u32_e32 v8, vcc, v3, v8
	v_addc_co_u32_e32 v11, vcc, v4, v11, vcc
	v_mad_u64_u32 v[3:4], s[0:1], v9, v11, 0
	v_mul_hi_u32 v12, v9, v8
	v_add_co_u32_e32 v13, vcc, v12, v3
	v_addc_co_u32_e32 v14, vcc, 0, v4, vcc
	v_mad_u64_u32 v[3:4], s[0:1], v10, v8, 0
	v_mad_u64_u32 v[11:12], s[0:1], v10, v11, 0
	v_add_co_u32_e32 v3, vcc, v13, v3
	v_addc_co_u32_e32 v3, vcc, v14, v4, vcc
	v_addc_co_u32_e32 v4, vcc, 0, v12, vcc
	v_add_co_u32_e32 v8, vcc, v3, v11
	v_addc_co_u32_e32 v11, vcc, 0, v4, vcc
	v_mul_lo_u32 v12, s29, v8
	v_mul_lo_u32 v13, s28, v11
	v_mad_u64_u32 v[3:4], s[0:1], s28, v8, 0
	v_add3_u32 v4, v4, v13, v12
	v_sub_u32_e32 v12, v10, v4
	v_mov_b32_e32 v13, s29
	v_sub_co_u32_e32 v3, vcc, v9, v3
	v_subb_co_u32_e64 v12, s[0:1], v12, v13, vcc
	v_subrev_co_u32_e64 v13, s[0:1], s28, v3
	v_subbrev_co_u32_e64 v12, s[0:1], 0, v12, s[0:1]
	v_cmp_le_u32_e64 s[0:1], s29, v12
	v_cndmask_b32_e64 v14, 0, -1, s[0:1]
	v_cmp_le_u32_e64 s[0:1], s28, v13
	v_cndmask_b32_e64 v13, 0, -1, s[0:1]
	v_cmp_eq_u32_e64 s[0:1], s29, v12
	v_cndmask_b32_e64 v12, v14, v13, s[0:1]
	v_add_co_u32_e64 v13, s[0:1], 2, v8
	v_addc_co_u32_e64 v14, s[0:1], 0, v11, s[0:1]
	v_add_co_u32_e64 v15, s[0:1], 1, v8
	v_addc_co_u32_e64 v16, s[0:1], 0, v11, s[0:1]
	v_subb_co_u32_e32 v4, vcc, v10, v4, vcc
	v_cmp_ne_u32_e64 s[0:1], 0, v12
	v_cmp_le_u32_e32 vcc, s29, v4
	v_cndmask_b32_e64 v12, v16, v14, s[0:1]
	v_cndmask_b32_e64 v14, 0, -1, vcc
	v_cmp_le_u32_e32 vcc, s28, v3
	v_cndmask_b32_e64 v3, 0, -1, vcc
	v_cmp_eq_u32_e32 vcc, s29, v4
	v_cndmask_b32_e32 v3, v14, v3, vcc
	v_cmp_ne_u32_e32 vcc, 0, v3
	v_cndmask_b32_e64 v3, v15, v13, s[0:1]
	v_cndmask_b32_e32 v4, v11, v12, vcc
	v_cndmask_b32_e32 v3, v8, v3, vcc
.LBB0_4:                                ;   in Loop: Header=BB0_2 Depth=1
	s_andn2_saveexec_b64 s[0:1], s[30:31]
	s_cbranch_execz .LBB0_6
; %bb.5:                                ;   in Loop: Header=BB0_2 Depth=1
	v_cvt_f32_u32_e32 v3, s28
	s_sub_i32 s30, 0, s28
	v_rcp_iflag_f32_e32 v3, v3
	v_mul_f32_e32 v3, 0x4f7ffffe, v3
	v_cvt_u32_f32_e32 v3, v3
	v_mul_lo_u32 v4, s30, v3
	v_mul_hi_u32 v4, v3, v4
	v_add_u32_e32 v3, v3, v4
	v_mul_hi_u32 v3, v9, v3
	v_mul_lo_u32 v4, v3, s28
	v_add_u32_e32 v8, 1, v3
	v_sub_u32_e32 v4, v9, v4
	v_subrev_u32_e32 v11, s28, v4
	v_cmp_le_u32_e32 vcc, s28, v4
	v_cndmask_b32_e32 v4, v4, v11, vcc
	v_cndmask_b32_e32 v3, v3, v8, vcc
	v_add_u32_e32 v8, 1, v3
	v_cmp_le_u32_e32 vcc, s28, v4
	v_cndmask_b32_e32 v3, v3, v8, vcc
	v_mov_b32_e32 v4, v7
.LBB0_6:                                ;   in Loop: Header=BB0_2 Depth=1
	s_or_b64 exec, exec, s[0:1]
	v_mul_lo_u32 v8, v4, s28
	v_mul_lo_u32 v13, v3, s29
	v_mad_u64_u32 v[11:12], s[0:1], v3, s28, 0
	s_load_dwordx2 s[0:1], s[6:7], 0x0
	s_load_dwordx2 s[28:29], s[2:3], 0x0
	v_add3_u32 v8, v12, v13, v8
	v_sub_co_u32_e32 v9, vcc, v9, v11
	v_subb_co_u32_e32 v8, vcc, v10, v8, vcc
	s_waitcnt lgkmcnt(0)
	v_mul_lo_u32 v10, s0, v8
	v_mul_lo_u32 v11, s1, v9
	v_mad_u64_u32 v[5:6], s[0:1], s0, v9, v[5:6]
	v_mul_lo_u32 v8, s28, v8
	v_mul_lo_u32 v12, s29, v9
	v_mad_u64_u32 v[1:2], s[0:1], s28, v9, v[1:2]
	s_add_u32 s26, s26, 1
	s_addc_u32 s27, s27, 0
	s_add_u32 s2, s2, 8
	v_add3_u32 v2, v12, v2, v8
	s_addc_u32 s3, s3, 0
	v_mov_b32_e32 v8, s10
	s_add_u32 s6, s6, 8
	v_mov_b32_e32 v9, s11
	s_addc_u32 s7, s7, 0
	v_cmp_ge_u64_e32 vcc, s[26:27], v[8:9]
	s_add_u32 s24, s24, 8
	v_add3_u32 v6, v11, v6, v10
	s_addc_u32 s25, s25, 0
	s_cbranch_vccnz .LBB0_9
; %bb.7:                                ;   in Loop: Header=BB0_2 Depth=1
	v_mov_b32_e32 v10, v4
	v_mov_b32_e32 v9, v3
	s_branch .LBB0_2
.LBB0_8:
	v_mov_b32_e32 v1, v5
	v_mov_b32_e32 v3, v9
	;; [unrolled: 1-line block ×4, first 2 shown]
.LBB0_9:
	s_load_dwordx2 s[0:1], s[4:5], 0x28
	s_mov_b32 s4, 0x1e1e1e2
	v_mul_hi_u32 v7, v0, s4
	s_lshl_b64 s[2:3], s[10:11], 3
	s_add_u32 s4, s18, s2
	s_waitcnt lgkmcnt(0)
	v_cmp_gt_u64_e32 vcc, s[0:1], v[3:4]
	v_mul_u32_u24_e32 v7, 0x88, v7
	v_sub_u32_e32 v0, v0, v7
	s_movk_i32 s0, 0x68
	v_cmp_gt_u32_e64 s[0:1], s0, v0
	s_addc_u32 s5, s19, s3
	s_and_b64 s[10:11], vcc, s[0:1]
	v_mov_b32_e32 v11, 0
	v_mov_b32_e32 v10, 0
                                        ; implicit-def: $vgpr13
                                        ; implicit-def: $vgpr15
                                        ; implicit-def: $vgpr17
                                        ; implicit-def: $vgpr19
                                        ; implicit-def: $vgpr21
                                        ; implicit-def: $vgpr23
                                        ; implicit-def: $vgpr25
                                        ; implicit-def: $vgpr27
                                        ; implicit-def: $vgpr29
                                        ; implicit-def: $vgpr31
                                        ; implicit-def: $vgpr33
                                        ; implicit-def: $vgpr35
                                        ; implicit-def: $vgpr37
                                        ; implicit-def: $vgpr39
                                        ; implicit-def: $vgpr43
                                        ; implicit-def: $vgpr41
	s_and_saveexec_b64 s[6:7], s[10:11]
	s_cbranch_execz .LBB0_11
; %bb.10:
	s_add_u32 s2, s16, s2
	s_addc_u32 s3, s17, s3
	s_load_dwordx2 s[2:3], s[2:3], 0x0
	v_mad_u64_u32 v[7:8], s[10:11], s22, v0, 0
	v_lshlrev_b64 v[5:6], 3, v[5:6]
	v_add_u32_e32 v15, 0x138, v0
	s_waitcnt lgkmcnt(0)
	v_mul_lo_u32 v13, s3, v3
	v_mul_lo_u32 v14, s2, v4
	v_mad_u64_u32 v[9:10], s[2:3], s2, v3, 0
	v_mad_u64_u32 v[11:12], s[2:3], s23, v0, v[8:9]
	v_add3_u32 v10, v10, v14, v13
	v_lshlrev_b64 v[9:10], 3, v[9:10]
	v_mov_b32_e32 v8, v11
	v_mov_b32_e32 v11, s13
	v_add_co_u32_e64 v12, s[2:3], s12, v9
	v_add_u32_e32 v13, 0x68, v0
	v_addc_co_u32_e64 v11, s[2:3], v11, v10, s[2:3]
	v_mad_u64_u32 v[9:10], s[2:3], s22, v13, 0
	v_add_co_u32_e64 v17, s[2:3], v12, v5
	v_addc_co_u32_e64 v18, s[2:3], v11, v6, s[2:3]
	v_lshlrev_b64 v[5:6], 3, v[7:8]
	v_mov_b32_e32 v7, v10
	v_mad_u64_u32 v[7:8], s[2:3], s23, v13, v[7:8]
	v_add_u32_e32 v13, 0xd0, v0
	v_mad_u64_u32 v[11:12], s[2:3], s22, v13, 0
	v_mov_b32_e32 v10, v7
	v_add_co_u32_e64 v5, s[2:3], v17, v5
	v_lshlrev_b64 v[7:8], 3, v[9:10]
	v_mov_b32_e32 v9, v12
	v_addc_co_u32_e64 v6, s[2:3], v18, v6, s[2:3]
	v_mad_u64_u32 v[9:10], s[2:3], s23, v13, v[9:10]
	v_mad_u64_u32 v[13:14], s[2:3], s22, v15, 0
	v_mov_b32_e32 v12, v9
	v_add_co_u32_e64 v7, s[2:3], v17, v7
	v_lshlrev_b64 v[9:10], 3, v[11:12]
	v_mov_b32_e32 v11, v14
	v_addc_co_u32_e64 v8, s[2:3], v18, v8, s[2:3]
	v_mad_u64_u32 v[11:12], s[2:3], s23, v15, v[11:12]
	v_add_u32_e32 v12, 0x1a0, v0
	v_mad_u64_u32 v[15:16], s[2:3], s22, v12, 0
	v_add_co_u32_e64 v40, s[2:3], v17, v9
	v_mov_b32_e32 v14, v11
	v_mov_b32_e32 v11, v16
	v_addc_co_u32_e64 v41, s[2:3], v18, v10, s[2:3]
	v_lshlrev_b64 v[9:10], 3, v[13:14]
	v_mad_u64_u32 v[11:12], s[2:3], s23, v12, v[11:12]
	v_add_u32_e32 v14, 0x208, v0
	v_mad_u64_u32 v[12:13], s[2:3], s22, v14, 0
	v_add_co_u32_e64 v42, s[2:3], v17, v9
	v_mov_b32_e32 v16, v11
	v_mov_b32_e32 v11, v13
	v_addc_co_u32_e64 v43, s[2:3], v18, v10, s[2:3]
	v_lshlrev_b64 v[9:10], 3, v[15:16]
	v_mad_u64_u32 v[13:14], s[2:3], s23, v14, v[11:12]
	v_add_u32_e32 v16, 0x270, v0
	v_mad_u64_u32 v[14:15], s[2:3], s22, v16, 0
	v_add_co_u32_e64 v44, s[2:3], v17, v9
	v_mov_b32_e32 v11, v15
	v_addc_co_u32_e64 v45, s[2:3], v18, v10, s[2:3]
	v_lshlrev_b64 v[9:10], 3, v[12:13]
	v_mad_u64_u32 v[11:12], s[2:3], s23, v16, v[11:12]
	v_add_u32_e32 v16, 0x2d8, v0
	v_mad_u64_u32 v[12:13], s[2:3], s22, v16, 0
	v_add_co_u32_e64 v46, s[2:3], v17, v9
	v_mov_b32_e32 v15, v11
	v_mov_b32_e32 v11, v13
	v_addc_co_u32_e64 v47, s[2:3], v18, v10, s[2:3]
	v_lshlrev_b64 v[9:10], 3, v[14:15]
	v_mad_u64_u32 v[13:14], s[2:3], s23, v16, v[11:12]
	v_add_u32_e32 v16, 0x340, v0
	v_mad_u64_u32 v[14:15], s[2:3], s22, v16, 0
	v_add_co_u32_e64 v48, s[2:3], v17, v9
	;; [unrolled: 15-line block ×5, first 2 shown]
	v_mov_b32_e32 v11, v15
	v_addc_co_u32_e64 v61, s[2:3], v18, v10, s[2:3]
	v_lshlrev_b64 v[9:10], 3, v[12:13]
	v_mad_u64_u32 v[11:12], s[2:3], s23, v16, v[11:12]
	v_add_u32_e32 v16, 0x618, v0
	v_mad_u64_u32 v[12:13], s[2:3], s22, v16, 0
	v_add_co_u32_e64 v62, s[2:3], v17, v9
	v_mov_b32_e32 v15, v11
	v_mov_b32_e32 v11, v13
	v_addc_co_u32_e64 v63, s[2:3], v18, v10, s[2:3]
	v_lshlrev_b64 v[9:10], 3, v[14:15]
	v_mad_u64_u32 v[13:14], s[2:3], s23, v16, v[11:12]
	v_or_b32_e32 v16, 0x680, v0
	v_mad_u64_u32 v[14:15], s[2:3], s22, v16, 0
	v_add_co_u32_e64 v64, s[2:3], v17, v9
	v_mov_b32_e32 v11, v15
	v_addc_co_u32_e64 v65, s[2:3], v18, v10, s[2:3]
	v_lshlrev_b64 v[9:10], 3, v[12:13]
	v_mad_u64_u32 v[11:12], s[2:3], s23, v16, v[11:12]
	v_add_co_u32_e64 v66, s[2:3], v17, v9
	v_mov_b32_e32 v15, v11
	v_addc_co_u32_e64 v67, s[2:3], v18, v10, s[2:3]
	v_lshlrev_b64 v[9:10], 3, v[14:15]
	v_add_co_u32_e64 v68, s[2:3], v17, v9
	v_addc_co_u32_e64 v69, s[2:3], v18, v10, s[2:3]
	global_load_dwordx2 v[10:11], v[5:6], off
	global_load_dwordx2 v[12:13], v[7:8], off
	;; [unrolled: 1-line block ×15, first 2 shown]
                                        ; kill: killed $vgpr58 killed $vgpr59
                                        ; kill: killed $vgpr48 killed $vgpr49
                                        ; kill: killed $vgpr7 killed $vgpr8
                                        ; kill: killed $vgpr62 killed $vgpr63
                                        ; kill: killed $vgpr52 killed $vgpr53
                                        ; kill: killed $vgpr42 killed $vgpr43
                                        ; kill: killed $vgpr56 killed $vgpr57
                                        ; kill: killed $vgpr46 killed $vgpr47
                                        ; kill: killed $vgpr5 killed $vgpr6
                                        ; kill: killed $vgpr60 killed $vgpr61
                                        ; kill: killed $vgpr50 killed $vgpr51
                                        ; kill: killed $vgpr40 killed $vgpr41
                                        ; kill: killed $vgpr64 killed $vgpr65
                                        ; kill: killed $vgpr54 killed $vgpr55
                                        ; kill: killed $vgpr44 killed $vgpr45
	global_load_dwordx2 v[40:41], v[66:67], off
	global_load_dwordx2 v[42:43], v[68:69], off
.LBB0_11:
	s_or_b64 exec, exec, s[6:7]
	s_waitcnt vmcnt(0)
	v_add_f32_e32 v7, v12, v42
	v_mul_f32_e32 v50, 0x3f3d2fb0, v7
	v_add_f32_e32 v9, v14, v40
	v_sub_f32_e32 v45, v13, v43
	v_mov_b32_e32 v5, v50
	v_mul_f32_e32 v53, 0x3dbcf732, v9
	v_fmac_f32_e32 v5, 0xbf2c7751, v45
	v_mul_f32_e32 v60, 0x3ee437d1, v7
	v_sub_f32_e32 v47, v15, v41
	v_mov_b32_e32 v8, v53
	v_add_f32_e32 v5, v10, v5
	v_mov_b32_e32 v6, v60
	v_fmac_f32_e32 v8, 0xbf7ee86f, v47
	v_mul_f32_e32 v63, 0xbf1a4643, v9
	v_fmac_f32_e32 v6, 0xbf65296c, v45
	v_add_f32_e32 v5, v5, v8
	v_mov_b32_e32 v8, v63
	v_add_f32_e32 v44, v16, v38
	v_add_f32_e32 v6, v10, v6
	v_fmac_f32_e32 v8, 0xbf4c4adb, v47
	v_mul_f32_e32 v56, 0xbf1a4643, v44
	v_add_f32_e32 v6, v6, v8
	v_sub_f32_e32 v49, v17, v39
	v_mov_b32_e32 v8, v56
	v_fmac_f32_e32 v8, 0xbf4c4adb, v49
	v_mul_f32_e32 v66, 0xbf7ba420, v44
	v_add_f32_e32 v5, v8, v5
	v_mov_b32_e32 v8, v66
	v_add_f32_e32 v46, v18, v36
	v_fmac_f32_e32 v8, 0x3e3c28d5, v49
	v_mul_f32_e32 v59, 0xbf7ba420, v46
	v_add_f32_e32 v6, v8, v6
	v_sub_f32_e32 v52, v19, v37
	v_mov_b32_e32 v8, v59
	v_fmac_f32_e32 v8, 0xbe3c28d5, v52
	v_mul_f32_e32 v68, 0xbe8c1d8e, v46
	v_add_f32_e32 v5, v8, v5
	v_mov_b32_e32 v8, v68
	;; [unrolled: 10-line block ×6, first 2 shown]
	v_fmac_f32_e32 v5, 0xbf06c442, v64
	v_mul_f32_e32 v74, 0x3dbcf732, v7
	v_add_f32_e32 v5, v5, v8
	v_mov_b32_e32 v8, v74
	v_mul_f32_e32 v75, 0xbf7ba420, v9
	v_fmac_f32_e32 v8, 0xbf7ee86f, v45
	v_mov_b32_e32 v76, v75
	v_add_f32_e32 v8, v10, v8
	v_fmac_f32_e32 v76, 0xbe3c28d5, v47
	v_add_f32_e32 v8, v8, v76
	v_mul_f32_e32 v76, 0xbe8c1d8e, v44
	v_mov_b32_e32 v77, v76
	v_fmac_f32_e32 v77, 0x3f763a35, v49
	v_add_f32_e32 v8, v77, v8
	v_mul_f32_e32 v77, 0x3f6eb680, v46
	v_mov_b32_e32 v78, v77
	;; [unrolled: 4-line block ×6, first 2 shown]
	v_fmac_f32_e32 v82, 0x3f2c7751, v64
	s_mov_b32 s6, 0x3f3d2fb0
	s_mov_b32 s13, 0x3ee437d1
	;; [unrolled: 1-line block ×8, first 2 shown]
	v_add_f32_e32 v8, v82, v8
	s_and_saveexec_b64 s[2:3], s[0:1]
	s_cbranch_execz .LBB0_13
; %bb.12:
	v_mul_f32_e32 v82, 0xbe3c28d5, v45
	v_mov_b32_e32 v83, v82
	v_mul_f32_e32 v84, 0x3eb8f4ab, v47
	v_fmac_f32_e32 v83, 0xbf7ba420, v7
	v_mov_b32_e32 v85, v84
	v_add_f32_e32 v83, v10, v83
	v_fmac_f32_e32 v85, 0x3f6eb680, v9
	v_add_f32_e32 v83, v83, v85
	v_mul_f32_e32 v85, 0xbf06c442, v49
	v_mov_b32_e32 v86, v85
	v_fmac_f32_e32 v86, 0xbf59a7d5, v44
	v_add_f32_e32 v83, v86, v83
	v_mul_f32_e32 v86, 0x3f2c7751, v52
	v_mov_b32_e32 v87, v86
	;; [unrolled: 4-line block ×3, first 2 shown]
	v_fmac_f32_e32 v88, 0xbf1a4643, v48
	v_add_f32_e32 v83, v88, v83
	v_mul_f32_e32 v88, 0x3f65296c, v57
	v_fma_f32 v82, v7, s17, -v82
	v_mov_b32_e32 v89, v88
	v_add_f32_e32 v82, v10, v82
	v_fma_f32 v84, v9, s10, -v84
	v_fmac_f32_e32 v89, 0x3ee437d1, v51
	v_add_f32_e32 v82, v82, v84
	v_fma_f32 v84, v44, s7, -v85
	v_add_f32_e32 v83, v89, v83
	v_mul_f32_e32 v89, 0xbf763a35, v61
	v_add_f32_e32 v82, v84, v82
	v_fma_f32 v84, v46, s6, -v86
	v_mov_b32_e32 v90, v89
	v_add_f32_e32 v82, v84, v82
	v_fma_f32 v84, v48, s11, -v87
	v_fmac_f32_e32 v90, 0xbe8c1d8e, v55
	v_add_f32_e32 v82, v84, v82
	v_fma_f32 v84, v51, s13, -v88
	v_add_f32_e32 v83, v90, v83
	v_mul_f32_e32 v90, 0x3f7ee86f, v64
	v_add_f32_e32 v82, v84, v82
	v_fma_f32 v84, v55, s16, -v89
	v_add_f32_e32 v82, v84, v82
	v_fma_f32 v84, v58, s12, -v90
	v_add_f32_e32 v82, v84, v82
	v_mul_f32_e32 v84, 0xbf06c442, v45
	v_mov_b32_e32 v85, v84
	v_mul_f32_e32 v86, 0x3f65296c, v47
	v_fmac_f32_e32 v85, 0xbf59a7d5, v7
	v_mov_b32_e32 v87, v86
	v_add_f32_e32 v85, v10, v85
	v_fmac_f32_e32 v87, 0x3ee437d1, v9
	v_add_f32_e32 v85, v85, v87
	v_mul_f32_e32 v87, 0xbf7ee86f, v49
	v_mov_b32_e32 v88, v87
	v_fmac_f32_e32 v88, 0x3dbcf732, v44
	v_add_f32_e32 v85, v88, v85
	v_mul_f32_e32 v88, 0x3f4c4adb, v52
	v_mov_b32_e32 v89, v88
	v_fmac_f32_e32 v89, 0xbf1a4643, v46
	v_add_f32_e32 v85, v89, v85
	v_mul_f32_e32 v89, 0xbeb8f4ab, v54
	v_mov_b32_e32 v91, v90
	v_mov_b32_e32 v90, v89
	v_fmac_f32_e32 v90, 0x3f6eb680, v48
	v_fmac_f32_e32 v91, 0x3dbcf732, v58
	v_add_f32_e32 v85, v90, v85
	v_mul_f32_e32 v90, 0xbe3c28d5, v57
	v_fma_f32 v84, v7, s7, -v84
	v_add_f32_e32 v83, v91, v83
	v_mov_b32_e32 v91, v90
	v_add_f32_e32 v84, v10, v84
	v_fma_f32 v86, v9, s13, -v86
	v_fmac_f32_e32 v91, 0xbf7ba420, v51
	v_add_f32_e32 v84, v84, v86
	v_fma_f32 v86, v44, s12, -v87
	v_add_f32_e32 v85, v91, v85
	v_mul_f32_e32 v91, 0x3f2c7751, v61
	v_add_f32_e32 v84, v86, v84
	v_fma_f32 v86, v46, s11, -v88
	v_mov_b32_e32 v92, v91
	v_add_f32_e32 v84, v86, v84
	v_fma_f32 v86, v48, s10, -v89
	v_fmac_f32_e32 v92, 0x3f3d2fb0, v55
	v_add_f32_e32 v84, v86, v84
	v_fma_f32 v86, v51, s17, -v90
	v_add_f32_e32 v85, v92, v85
	v_mul_f32_e32 v92, 0xbf763a35, v64
	v_add_f32_e32 v84, v86, v84
	v_fma_f32 v86, v55, s6, -v91
	v_add_f32_e32 v84, v86, v84
	v_fma_f32 v86, v58, s16, -v92
	v_add_f32_e32 v84, v86, v84
	v_mul_f32_e32 v86, 0xbf4c4adb, v45
	v_mov_b32_e32 v87, v86
	v_mul_f32_e32 v88, 0x3f763a35, v47
	v_fmac_f32_e32 v87, 0xbf1a4643, v7
	v_mov_b32_e32 v89, v88
	v_add_f32_e32 v87, v10, v87
	v_fmac_f32_e32 v89, 0xbe8c1d8e, v9
	v_add_f32_e32 v87, v87, v89
	v_mul_f32_e32 v89, 0xbeb8f4ab, v49
	v_mov_b32_e32 v90, v89
	v_fmac_f32_e32 v90, 0x3f6eb680, v44
	v_add_f32_e32 v87, v90, v87
	v_mul_f32_e32 v90, 0xbf06c442, v52
	v_mov_b32_e32 v91, v90
	v_fmac_f32_e32 v91, 0xbf59a7d5, v46
	v_add_f32_e32 v87, v91, v87
	v_mul_f32_e32 v91, 0x3f7ee86f, v54
	v_mov_b32_e32 v93, v92
	v_mov_b32_e32 v92, v91
	v_fmac_f32_e32 v92, 0x3dbcf732, v48
	v_fmac_f32_e32 v93, 0xbe8c1d8e, v58
	v_add_f32_e32 v87, v92, v87
	v_mul_f32_e32 v92, 0xbf2c7751, v57
	v_fma_f32 v86, v7, s11, -v86
	v_add_f32_e32 v85, v93, v85
	;; [unrolled: 48-line block ×3, first 2 shown]
	v_mov_b32_e32 v95, v94
	v_add_f32_e32 v88, v10, v88
	v_fma_f32 v90, v9, s7, -v90
	v_fmac_f32_e32 v95, 0x3dbcf732, v51
	v_add_f32_e32 v88, v88, v90
	v_fma_f32 v90, v44, s6, -v91
	v_add_f32_e32 v89, v95, v89
	v_mul_f32_e32 v95, 0xbeb8f4ab, v61
	v_add_f32_e32 v88, v90, v88
	v_fma_f32 v90, v46, s13, -v92
	v_mov_b32_e32 v96, v95
	v_add_f32_e32 v88, v90, v88
	v_fma_f32 v90, v48, s17, -v93
	v_fmac_f32_e32 v96, 0x3f6eb680, v55
	v_add_f32_e32 v88, v90, v88
	v_fma_f32 v90, v51, s12, -v94
	v_add_f32_e32 v89, v96, v89
	v_mul_f32_e32 v96, 0xbf4c4adb, v64
	v_add_f32_e32 v88, v90, v88
	v_fma_f32 v90, v55, s10, -v95
	v_add_f32_e32 v88, v90, v88
	v_fma_f32 v90, v58, s11, -v96
	v_add_f32_e32 v88, v90, v88
	v_mul_f32_e32 v90, 0xbf7ee86f, v45
	v_sub_f32_e32 v74, v74, v90
	v_mul_f32_e32 v90, 0xbe3c28d5, v47
	v_sub_f32_e32 v75, v75, v90
	v_add_f32_e32 v74, v10, v74
	v_add_f32_e32 v74, v74, v75
	v_mul_f32_e32 v75, 0x3f763a35, v49
	v_sub_f32_e32 v75, v76, v75
	v_add_f32_e32 v74, v75, v74
	v_mul_f32_e32 v75, 0x3eb8f4ab, v52
	v_sub_f32_e32 v75, v77, v75
	v_add_f32_e32 v74, v75, v74
	v_mul_f32_e32 v75, 0xbf65296c, v54
	v_sub_f32_e32 v75, v78, v75
	v_add_f32_e32 v74, v75, v74
	v_mul_f32_e32 v75, 0xbf06c442, v57
	v_sub_f32_e32 v75, v79, v75
	v_add_f32_e32 v74, v75, v74
	v_mul_f32_e32 v75, 0x3f4c4adb, v61
	v_sub_f32_e32 v75, v80, v75
	v_add_f32_e32 v74, v75, v74
	v_mul_f32_e32 v75, 0x3f2c7751, v64
	v_sub_f32_e32 v75, v81, v75
	v_add_f32_e32 v74, v75, v74
	v_mul_f32_e32 v75, 0xbf65296c, v45
	v_sub_f32_e32 v60, v60, v75
	v_mul_f32_e32 v75, 0xbf4c4adb, v47
	v_sub_f32_e32 v63, v63, v75
	v_add_f32_e32 v60, v10, v60
	v_add_f32_e32 v60, v60, v63
	v_mul_f32_e32 v63, 0x3e3c28d5, v49
	v_sub_f32_e32 v63, v66, v63
	v_add_f32_e32 v60, v63, v60
	v_mul_f32_e32 v63, 0x3f763a35, v52
	v_sub_f32_e32 v63, v68, v63
	;; [unrolled: 3-line block ×7, first 2 shown]
	v_mul_f32_e32 v63, 0xbf7ee86f, v47
	v_sub_f32_e32 v53, v53, v63
	v_add_f32_e32 v50, v10, v50
	v_add_f32_e32 v50, v50, v53
	v_mul_f32_e32 v53, 0xbf4c4adb, v49
	v_sub_f32_e32 v53, v56, v53
	v_mul_f32_e32 v56, 0xbe3c28d5, v52
	v_add_f32_e32 v50, v53, v50
	v_mul_f32_e32 v53, 0x3f06c442, v54
	v_sub_f32_e32 v56, v59, v56
	v_mul_f32_e32 v59, 0x3f763a35, v57
	v_add_f32_e32 v50, v56, v50
	v_sub_f32_e32 v53, v62, v53
	v_mul_f32_e32 v56, 0x3f65296c, v61
	v_add_f32_e32 v50, v53, v50
	;; [unrolled: 3-line block ×3, first 2 shown]
	v_sub_f32_e32 v53, v67, v56
	v_add_f32_e32 v50, v53, v50
	v_sub_f32_e32 v53, v69, v62
	v_mul_f32_e32 v45, 0xbeb8f4ab, v45
	v_add_f32_e32 v50, v53, v50
	v_mov_b32_e32 v53, v45
	v_mul_f32_e32 v47, 0xbf2c7751, v47
	v_fmac_f32_e32 v53, 0x3f6eb680, v7
	v_mov_b32_e32 v56, v47
	v_add_f32_e32 v53, v10, v53
	v_fmac_f32_e32 v56, 0x3f3d2fb0, v9
	v_mul_f32_e32 v49, 0xbf65296c, v49
	v_add_f32_e32 v53, v53, v56
	v_mov_b32_e32 v56, v49
	v_fmac_f32_e32 v56, 0x3ee437d1, v44
	v_mul_f32_e32 v52, 0xbf7ee86f, v52
	v_add_f32_e32 v53, v56, v53
	v_mov_b32_e32 v56, v52
	;; [unrolled: 4-line block ×3, first 2 shown]
	v_fmac_f32_e32 v56, 0xbe8c1d8e, v48
	v_add_f32_e32 v53, v56, v53
	v_mul_f32_e32 v56, 0xbf4c4adb, v57
	v_fma_f32 v7, v7, s10, -v45
	v_mov_b32_e32 v57, v56
	v_add_f32_e32 v7, v10, v7
	v_fma_f32 v9, v9, s6, -v47
	v_fmac_f32_e32 v57, 0xbf1a4643, v51
	v_add_f32_e32 v7, v7, v9
	v_fma_f32 v9, v44, s13, -v49
	v_add_f32_e32 v53, v57, v53
	v_mul_f32_e32 v57, 0xbf06c442, v61
	v_add_f32_e32 v7, v9, v7
	v_fma_f32 v9, v46, s12, -v52
	v_mov_b32_e32 v59, v57
	v_add_f32_e32 v7, v9, v7
	v_fma_f32 v9, v48, s16, -v54
	v_fmac_f32_e32 v59, 0xbf59a7d5, v55
	v_add_f32_e32 v7, v9, v7
	v_fma_f32 v9, v51, s11, -v56
	v_add_f32_e32 v53, v59, v53
	v_mul_f32_e32 v59, 0xbe3c28d5, v64
	v_add_f32_e32 v7, v9, v7
	v_fma_f32 v9, v55, s7, -v57
	v_add_f32_e32 v7, v9, v7
	v_fma_f32 v9, v58, s17, -v59
	v_add_f32_e32 v7, v9, v7
	v_add_f32_e32 v9, v10, v12
	;; [unrolled: 1-line block ×15, first 2 shown]
	v_mov_b32_e32 v97, v96
	v_mov_b32_e32 v61, v59
	v_add_f32_e32 v9, v9, v40
	s_movk_i32 s18, 0x44
	v_fmac_f32_e32 v97, 0xbf1a4643, v58
	v_fmac_f32_e32 v61, 0xbf7ba420, v58
	v_add_f32_e32 v9, v42, v9
	v_mad_u32_u24 v10, v0, s18, 0
	v_add_f32_e32 v89, v97, v89
	v_add_f32_e32 v53, v61, v53
	ds_write2_b32 v10, v9, v7 offset1:1
	ds_write2_b32 v10, v50, v60 offset0:2 offset1:3
	ds_write2_b32 v10, v74, v88 offset0:4 offset1:5
	;; [unrolled: 1-line block ×7, first 2 shown]
	ds_write_b32 v10, v53 offset:64
.LBB0_13:
	s_or_b64 exec, exec, s[2:3]
	v_sub_f32_e32 v82, v12, v42
	v_add_f32_e32 v79, v13, v43
	v_mul_f32_e32 v84, 0xbf2c7751, v82
	v_sub_f32_e32 v75, v14, v40
	v_fma_f32 v7, v79, s6, -v84
	v_mul_f32_e32 v85, 0xbf65296c, v82
	v_add_f32_e32 v74, v15, v41
	v_mul_f32_e32 v80, 0xbf7ee86f, v75
	v_add_f32_e32 v7, v11, v7
	v_fma_f32 v9, v79, s13, -v85
	v_mul_f32_e32 v86, 0xbf7ee86f, v82
	v_fma_f32 v12, v74, s12, -v80
	v_mul_f32_e32 v81, 0xbf4c4adb, v75
	v_add_f32_e32 v9, v11, v9
	v_fma_f32 v10, v79, s12, -v86
	v_add_f32_e32 v7, v7, v12
	v_fma_f32 v12, v74, s11, -v81
	v_mul_f32_e32 v83, 0xbe3c28d5, v75
	v_sub_f32_e32 v70, v16, v38
	v_add_f32_e32 v10, v11, v10
	v_add_f32_e32 v9, v9, v12
	v_fma_f32 v12, v74, s17, -v83
	v_add_f32_e32 v69, v17, v39
	v_mul_f32_e32 v76, 0xbf4c4adb, v70
	v_add_f32_e32 v10, v10, v12
	v_fma_f32 v12, v69, s11, -v76
	v_mul_f32_e32 v77, 0x3e3c28d5, v70
	v_add_f32_e32 v7, v12, v7
	v_fma_f32 v12, v69, s17, -v77
	v_mul_f32_e32 v78, 0x3f763a35, v70
	v_sub_f32_e32 v65, v18, v36
	v_add_f32_e32 v9, v12, v9
	v_fma_f32 v12, v69, s16, -v78
	v_add_f32_e32 v64, v19, v37
	v_mul_f32_e32 v71, 0xbe3c28d5, v65
	v_add_f32_e32 v10, v12, v10
	v_fma_f32 v12, v64, s17, -v71
	v_mul_f32_e32 v72, 0x3f763a35, v65
	v_add_f32_e32 v7, v12, v7
	v_fma_f32 v12, v64, s16, -v72
	v_mul_f32_e32 v73, 0x3eb8f4ab, v65
	v_sub_f32_e32 v60, v20, v34
	;; [unrolled: 11-line block ×5, first 2 shown]
	v_add_f32_e32 v9, v12, v9
	v_fma_f32 v12, v32, s11, -v58
	v_add_f32_e32 v20, v27, v29
	v_mul_f32_e32 v28, 0x3eb8f4ab, v26
	v_add_f32_e32 v12, v12, v10
	v_fma_f32 v10, v20, s10, -v28
	v_mul_f32_e32 v34, 0xbf06c442, v26
	v_lshl_add_u32 v38, v0, 2, 0
	v_add_f32_e32 v10, v10, v7
	v_fma_f32 v7, v20, s7, -v34
	v_add_u32_e32 v14, 0x400, v38
	v_add_u32_e32 v16, 0x800, v38
	;; [unrolled: 1-line block ×5, first 2 shown]
	v_add_f32_e32 v9, v7, v9
	s_waitcnt lgkmcnt(0)
	s_barrier
	ds_read2_b32 v[44:45], v38 offset1:136
	ds_read2_b32 v[54:55], v14 offset0:16 offset1:152
	ds_read2_b32 v[52:53], v16 offset0:32 offset1:168
	;; [unrolled: 1-line block ×5, first 2 shown]
	ds_read_b32 v7, v38 offset:6528
	v_mul_f32_e32 v36, 0x3f2c7751, v26
	v_fma_f32 v87, v20, s6, -v36
	v_add_f32_e32 v12, v87, v12
	s_waitcnt lgkmcnt(0)
	s_barrier
	s_and_saveexec_b64 s[2:3], s[0:1]
	s_cbranch_execz .LBB0_15
; %bb.14:
	v_add_f32_e32 v13, v11, v13
	v_add_f32_e32 v13, v13, v15
	;; [unrolled: 1-line block ×13, first 2 shown]
	v_mul_f32_e32 v37, 0xbe3c28d5, v82
	v_mul_f32_e32 v87, 0x3f3d2fb0, v79
	;; [unrolled: 1-line block ×4, first 2 shown]
	v_add_f32_e32 v13, v13, v39
	v_mul_f32_e32 v15, 0xbeb8f4ab, v82
	s_mov_b32 s6, 0x3f6eb680
	v_mul_f32_e32 v25, 0xbf763a35, v82
	s_mov_b32 s0, 0xbe8c1d8e
	;; [unrolled: 2-line block ×4, first 2 shown]
	s_mov_b32 s7, 0xbf7ba420
	v_mov_b32_e32 v39, v37
	v_fma_f32 v17, v79, s6, -v15
	v_fmac_f32_e32 v15, 0x3f6eb680, v79
	v_add_f32_e32 v19, v87, v84
	v_add_f32_e32 v21, v88, v85
	;; [unrolled: 1-line block ×3, first 2 shown]
	v_fma_f32 v27, v79, s0, -v25
	v_fmac_f32_e32 v25, 0xbe8c1d8e, v79
	v_fma_f32 v31, v79, s1, -v29
	v_fmac_f32_e32 v29, 0xbf1a4643, v79
	;; [unrolled: 2-line block ×3, first 2 shown]
	v_fmac_f32_e32 v39, 0xbf7ba420, v79
	v_fma_f32 v37, v79, s7, -v37
	v_add_f32_e32 v15, v11, v15
	v_add_f32_e32 v17, v11, v17
	;; [unrolled: 1-line block ×13, first 2 shown]
	v_mul_f32_e32 v37, 0xbf2c7751, v75
	s_mov_b32 s11, 0x3f3d2fb0
	v_mul_f32_e32 v90, 0x3dbcf732, v74
	v_add_f32_e32 v13, v13, v41
	v_fma_f32 v41, v74, s11, -v37
	v_fmac_f32_e32 v37, 0x3f3d2fb0, v74
	v_mul_f32_e32 v91, 0xbf1a4643, v74
	v_add_f32_e32 v15, v15, v37
	v_add_f32_e32 v37, v90, v80
	v_mul_f32_e32 v92, 0xbf7ba420, v74
	v_add_f32_e32 v19, v19, v37
	v_add_f32_e32 v37, v91, v81
	;; [unrolled: 1-line block ×5, first 2 shown]
	v_mul_f32_e32 v37, 0x3f06c442, v75
	v_add_f32_e32 v17, v17, v41
	v_fma_f32 v41, v74, s12, -v37
	v_fmac_f32_e32 v37, 0xbf59a7d5, v74
	v_add_f32_e32 v25, v25, v37
	v_mul_f32_e32 v37, 0x3f763a35, v75
	v_add_f32_e32 v27, v27, v41
	v_fma_f32 v41, v74, s0, -v37
	v_fmac_f32_e32 v37, 0xbe8c1d8e, v74
	v_add_f32_e32 v29, v29, v37
	v_mul_f32_e32 v37, 0x3f65296c, v75
	s_mov_b32 s10, 0x3ee437d1
	v_add_f32_e32 v31, v31, v41
	v_fma_f32 v41, v74, s10, -v37
	v_fmac_f32_e32 v37, 0x3ee437d1, v74
	v_add_f32_e32 v33, v33, v37
	v_mul_f32_e32 v37, 0x3eb8f4ab, v75
	v_add_f32_e32 v35, v35, v41
	v_mov_b32_e32 v41, v37
	v_fma_f32 v37, v74, s6, -v37
	v_fmac_f32_e32 v41, 0x3f6eb680, v74
	v_add_f32_e32 v11, v11, v37
	v_mul_f32_e32 v37, 0xbf65296c, v70
	v_mul_f32_e32 v93, 0xbf1a4643, v69
	v_add_f32_e32 v39, v39, v41
	v_fma_f32 v41, v69, s10, -v37
	v_fmac_f32_e32 v37, 0x3ee437d1, v69
	v_mul_f32_e32 v94, 0xbf7ba420, v69
	v_add_f32_e32 v15, v37, v15
	v_add_f32_e32 v37, v93, v76
	v_mul_f32_e32 v95, 0xbe8c1d8e, v69
	v_add_f32_e32 v19, v37, v19
	v_add_f32_e32 v37, v94, v77
	v_add_f32_e32 v21, v37, v21
	v_add_f32_e32 v37, v95, v78
	v_add_f32_e32 v23, v37, v23
	v_mul_f32_e32 v37, 0x3f2c7751, v70
	v_add_f32_e32 v17, v41, v17
	v_fma_f32 v41, v69, s11, -v37
	v_fmac_f32_e32 v37, 0x3f3d2fb0, v69
	v_add_f32_e32 v25, v37, v25
	v_mul_f32_e32 v37, 0xbeb8f4ab, v70
	v_add_f32_e32 v27, v41, v27
	v_fma_f32 v41, v69, s6, -v37
	v_fmac_f32_e32 v37, 0x3f6eb680, v69
	v_add_f32_e32 v29, v37, v29
	v_mul_f32_e32 v37, 0xbf7ee86f, v70
	s_mov_b32 s13, 0x3dbcf732
	v_add_f32_e32 v31, v41, v31
	v_fma_f32 v41, v69, s13, -v37
	v_fmac_f32_e32 v37, 0x3dbcf732, v69
	v_add_f32_e32 v33, v37, v33
	v_mul_f32_e32 v37, 0xbf06c442, v70
	v_add_f32_e32 v35, v41, v35
	v_mov_b32_e32 v41, v37
	v_fma_f32 v37, v69, s12, -v37
	v_fmac_f32_e32 v41, 0xbf59a7d5, v69
	v_add_f32_e32 v11, v37, v11
	v_mul_f32_e32 v37, 0xbf7ee86f, v65
	v_mul_f32_e32 v96, 0xbf7ba420, v64
	v_add_f32_e32 v39, v41, v39
	v_fma_f32 v41, v64, s13, -v37
	v_fmac_f32_e32 v37, 0x3dbcf732, v64
	v_mul_f32_e32 v97, 0xbe8c1d8e, v64
	v_add_f32_e32 v15, v37, v15
	v_add_f32_e32 v37, v96, v71
	v_mul_f32_e32 v98, 0x3f6eb680, v64
	v_add_f32_e32 v19, v37, v19
	v_add_f32_e32 v37, v97, v72
	v_add_f32_e32 v21, v37, v21
	v_add_f32_e32 v37, v98, v73
	v_add_f32_e32 v23, v37, v23
	v_mul_f32_e32 v37, 0xbf65296c, v65
	v_add_f32_e32 v17, v41, v17
	v_fma_f32 v41, v64, s10, -v37
	v_fmac_f32_e32 v37, 0x3ee437d1, v64
	v_add_f32_e32 v25, v37, v25
	v_mul_f32_e32 v37, 0xbf06c442, v65
	v_add_f32_e32 v27, v41, v27
	v_fma_f32 v41, v64, s12, -v37
	v_fmac_f32_e32 v37, 0xbf59a7d5, v64
	v_add_f32_e32 v29, v37, v29
	v_mul_f32_e32 v37, 0x3f4c4adb, v65
	v_add_f32_e32 v31, v41, v31
	v_fma_f32 v41, v64, s1, -v37
	v_fmac_f32_e32 v37, 0xbf1a4643, v64
	v_add_f32_e32 v33, v37, v33
	v_mul_f32_e32 v37, 0x3f2c7751, v65
	v_add_f32_e32 v35, v41, v35
	v_mov_b32_e32 v41, v37
	v_fma_f32 v37, v64, s11, -v37
	v_fmac_f32_e32 v41, 0x3f3d2fb0, v64
	v_add_f32_e32 v11, v37, v11
	v_mul_f32_e32 v37, 0xbf763a35, v60
	v_mul_f32_e32 v99, 0xbf59a7d5, v59
	v_add_f32_e32 v39, v41, v39
	v_fma_f32 v41, v59, s0, -v37
	v_fmac_f32_e32 v37, 0xbe8c1d8e, v59
	v_mul_f32_e32 v100, 0x3f3d2fb0, v59
	v_add_f32_e32 v15, v37, v15
	v_add_f32_e32 v37, v99, v66
	v_mul_f32_e32 v101, 0x3ee437d1, v59
	v_add_f32_e32 v19, v37, v19
	v_add_f32_e32 v37, v100, v67
	v_add_f32_e32 v21, v37, v21
	v_add_f32_e32 v37, v101, v68
	v_add_f32_e32 v23, v37, v23
	v_mul_f32_e32 v37, 0xbe3c28d5, v60
	v_add_f32_e32 v17, v41, v17
	v_fma_f32 v41, v59, s7, -v37
	v_fmac_f32_e32 v37, 0xbf7ba420, v59
	v_add_f32_e32 v25, v37, v25
	v_mul_f32_e32 v37, 0x3f7ee86f, v60
	v_add_f32_e32 v27, v41, v27
	v_fma_f32 v41, v59, s13, -v37
	v_fmac_f32_e32 v37, 0x3dbcf732, v59
	v_add_f32_e32 v29, v37, v29
	v_mul_f32_e32 v37, 0xbeb8f4ab, v60
	;; [unrolled: 35-line block ×3, first 2 shown]
	v_add_f32_e32 v31, v41, v31
	v_fma_f32 v41, v40, s7, -v37
	v_fmac_f32_e32 v37, 0xbf7ba420, v40
	v_add_f32_e32 v33, v37, v33
	v_mul_f32_e32 v37, 0x3f65296c, v42
	v_add_f32_e32 v35, v41, v35
	v_mov_b32_e32 v41, v37
	v_fma_f32 v37, v40, s10, -v37
	v_add_f32_e32 v11, v37, v11
	v_mul_f32_e32 v37, 0xbf06c442, v30
	v_mul_f32_e32 v105, 0x3ee437d1, v32
	v_fmac_f32_e32 v41, 0x3ee437d1, v40
	v_fma_f32 v40, v32, s12, -v37
	v_fmac_f32_e32 v37, 0xbf59a7d5, v32
	v_mul_f32_e32 v106, 0x3dbcf732, v32
	v_add_f32_e32 v15, v37, v15
	v_add_f32_e32 v37, v105, v56
	v_mul_f32_e32 v107, 0xbf1a4643, v32
	v_add_f32_e32 v19, v37, v19
	v_add_f32_e32 v37, v106, v57
	v_add_f32_e32 v21, v37, v21
	v_add_f32_e32 v37, v107, v58
	v_add_f32_e32 v23, v37, v23
	v_mul_f32_e32 v37, 0xbeb8f4ab, v30
	v_add_f32_e32 v17, v40, v17
	v_fma_f32 v40, v32, s6, -v37
	v_fmac_f32_e32 v37, 0x3f6eb680, v32
	v_add_f32_e32 v25, v37, v25
	v_mul_f32_e32 v37, 0xbe3c28d5, v30
	v_add_f32_e32 v27, v40, v27
	v_fma_f32 v40, v32, s7, -v37
	v_fmac_f32_e32 v37, 0xbf7ba420, v32
	v_mul_f32_e32 v108, 0x3f6eb680, v20
	v_add_f32_e32 v29, v37, v29
	v_mul_f32_e32 v37, 0x3f2c7751, v30
	v_mul_f32_e32 v109, 0xbf59a7d5, v20
	v_add_f32_e32 v31, v40, v31
	v_fma_f32 v40, v32, s11, -v37
	v_fmac_f32_e32 v37, 0x3f3d2fb0, v32
	v_mul_f32_e32 v30, 0xbf763a35, v30
	v_add_f32_e32 v28, v108, v28
	v_mul_f32_e32 v110, 0x3f3d2fb0, v20
	v_add_f32_e32 v33, v37, v33
	v_mov_b32_e32 v37, v30
	v_fma_f32 v30, v32, s0, -v30
	v_add_f32_e32 v19, v28, v19
	v_add_f32_e32 v28, v109, v34
	;; [unrolled: 1-line block ×3, first 2 shown]
	v_mul_f32_e32 v30, 0xbe3c28d5, v26
	v_add_f32_e32 v21, v28, v21
	v_add_f32_e32 v28, v110, v36
	v_fmac_f32_e32 v37, 0xbe8c1d8e, v32
	v_fma_f32 v32, v20, s7, -v30
	v_fmac_f32_e32 v30, 0xbf7ba420, v20
	v_add_f32_e32 v23, v28, v23
	v_mul_f32_e32 v28, 0xbf4c4adb, v26
	v_add_f32_e32 v15, v30, v15
	v_fma_f32 v30, v20, s1, -v28
	v_fmac_f32_e32 v28, 0xbf1a4643, v20
	v_add_f32_e32 v25, v28, v25
	v_mul_f32_e32 v28, 0x3f65296c, v26
	v_add_f32_e32 v27, v30, v27
	v_fma_f32 v30, v20, s10, -v28
	v_fmac_f32_e32 v28, 0x3ee437d1, v20
	v_add_f32_e32 v28, v28, v29
	v_add_f32_e32 v29, v30, v31
	v_mul_f32_e32 v30, 0xbf763a35, v26
	v_mul_f32_e32 v26, 0x3f7ee86f, v26
	v_add_f32_e32 v17, v32, v17
	v_mov_b32_e32 v32, v26
	v_add_f32_e32 v39, v41, v39
	v_fma_f32 v31, v20, s0, -v30
	v_fmac_f32_e32 v30, 0xbe8c1d8e, v20
	v_fmac_f32_e32 v32, 0x3dbcf732, v20
	v_fma_f32 v20, v20, s13, -v26
	v_add_f32_e32 v13, v43, v13
	v_add_f32_e32 v35, v40, v35
	;; [unrolled: 1-line block ×4, first 2 shown]
	v_lshl_add_u32 v20, v0, 6, v38
	v_add_f32_e32 v30, v30, v33
	v_add_f32_e32 v31, v31, v35
	;; [unrolled: 1-line block ×3, first 2 shown]
	ds_write2_b32 v20, v13, v15 offset1:1
	ds_write2_b32 v20, v19, v21 offset0:2 offset1:3
	ds_write2_b32 v20, v23, v25 offset0:4 offset1:5
	ds_write2_b32 v20, v28, v30 offset0:6 offset1:7
	ds_write2_b32 v20, v32, v11 offset0:8 offset1:9
	ds_write2_b32 v20, v31, v29 offset0:10 offset1:11
	ds_write2_b32 v20, v27, v12 offset0:12 offset1:13
	ds_write2_b32 v20, v9, v10 offset0:14 offset1:15
	ds_write_b32 v20, v17 offset:64
.LBB0_15:
	s_or_b64 exec, exec, s[2:3]
	s_movk_i32 s0, 0xf1
	v_mul_lo_u16_sdwa v11, v0, s0 dst_sel:DWORD dst_unused:UNUSED_PAD src0_sel:BYTE_0 src1_sel:DWORD
	v_lshrrev_b16_e32 v81, 12, v11
	v_mul_lo_u16_e32 v11, 17, v81
	v_sub_u16_e32 v82, v0, v11
	v_mov_b32_e32 v11, 12
	v_mul_u32_u24_sdwa v11, v82, v11 dst_sel:DWORD dst_unused:UNUSED_PAD src0_sel:BYTE_0 src1_sel:DWORD
	v_lshlrev_b32_e32 v11, 3, v11
	s_load_dwordx2 s[2:3], s[4:5], 0x0
	s_waitcnt lgkmcnt(0)
	s_barrier
	global_load_dwordx4 v[25:28], v11, s[8:9]
	global_load_dwordx4 v[59:62], v11, s[8:9] offset:16
	global_load_dwordx4 v[63:66], v11, s[8:9] offset:32
	;; [unrolled: 1-line block ×5, first 2 shown]
	ds_read2_b32 v[19:20], v38 offset1:136
	ds_read2_b32 v[13:14], v14 offset0:16 offset1:152
	ds_read2_b32 v[15:16], v16 offset0:32 offset1:168
	;; [unrolled: 1-line block ×5, first 2 shown]
	ds_read_b32 v83, v38 offset:6528
	s_mov_b32 s10, 0x3f62ad3f
	s_mov_b32 s7, 0x3f116cb1
	;; [unrolled: 1-line block ×6, first 2 shown]
	s_waitcnt vmcnt(0) lgkmcnt(0)
	s_barrier
	s_movk_i32 s0, 0x55
	v_cmp_gt_u32_e64 s[0:1], s0, v0
	v_mul_f32_e32 v24, v20, v26
	v_mul_f32_e32 v56, v45, v26
	;; [unrolled: 1-line block ×12, first 2 shown]
	v_fma_f32 v57, v45, v25, -v24
	v_mul_f32_e32 v41, v54, v28
	v_mul_f32_e32 v28, v14, v60
	;; [unrolled: 1-line block ×5, first 2 shown]
	v_fma_f32 v45, v54, v27, -v26
	v_fma_f32 v24, v51, v67, -v42
	;; [unrolled: 1-line block ×5, first 2 shown]
	v_add_f32_e32 v7, v44, v57
	v_mul_f32_e32 v31, v15, v62
	v_fma_f32 v40, v55, v59, -v28
	v_add_f32_e32 v7, v7, v45
	v_fma_f32 v35, v52, v61, -v31
	v_add_f32_e32 v7, v7, v40
	;; [unrolled: 2-line block ×3, first 2 shown]
	v_fmac_f32_e32 v56, v20, v25
	v_fma_f32 v20, v50, v65, -v36
	v_add_f32_e32 v7, v7, v31
	v_mul_f32_e32 v37, v55, v60
	v_mul_f32_e32 v60, v21, v70
	v_add_f32_e32 v7, v7, v20
	v_mul_f32_e32 v33, v52, v62
	v_mul_f32_e32 v62, v22, v72
	v_fma_f32 v32, v48, v69, -v60
	v_add_f32_e32 v7, v7, v24
	v_fma_f32 v36, v49, v71, -v62
	v_add_f32_e32 v7, v7, v32
	v_fmac_f32_e32 v58, v83, v77
	v_add_f32_e32 v7, v7, v36
	v_fmac_f32_e32 v37, v14, v59
	v_sub_f32_e32 v14, v56, v58
	v_add_f32_e32 v7, v7, v42
	v_mul_f32_e32 v30, v48, v70
	v_mul_f32_e32 v34, v49, v72
	v_fmac_f32_e32 v41, v13, v27
	v_fmac_f32_e32 v33, v15, v61
	;; [unrolled: 1-line block ×4, first 2 shown]
	v_add_f32_e32 v13, v57, v47
	v_mul_f32_e32 v15, 0xbeedf032, v14
	v_mul_f32_e32 v16, 0xbf52af12, v14
	;; [unrolled: 1-line block ×3, first 2 shown]
	v_add_f32_e32 v7, v7, v46
	v_mul_f32_e32 v25, 0xbf6f5d39, v14
	v_mul_f32_e32 v27, 0xbf29c268, v14
	;; [unrolled: 1-line block ×3, first 2 shown]
	v_fmac_f32_e32 v23, v18, v67
	v_fmac_f32_e32 v30, v21, v69
	;; [unrolled: 1-line block ×4, first 2 shown]
	v_fma_f32 v18, v13, s10, -v15
	v_fmac_f32_e32 v15, 0x3f62ad3f, v13
	v_fma_f32 v21, v13, s7, -v16
	v_fmac_f32_e32 v16, 0x3f116cb1, v13
	v_add_f32_e32 v22, v7, v47
	v_fma_f32 v7, v13, s6, -v17
	v_fmac_f32_e32 v17, 0x3df6dbef, v13
	v_fma_f32 v26, v13, s11, -v25
	v_fmac_f32_e32 v25, 0xbeb58ec6, v13
	;; [unrolled: 2-line block ×4, first 2 shown]
	v_add_f32_e32 v18, v44, v18
	v_add_f32_e32 v15, v44, v15
	;; [unrolled: 1-line block ×12, first 2 shown]
	v_sub_f32_e32 v44, v41, v43
	v_add_f32_e32 v14, v45, v46
	v_mul_f32_e32 v49, 0xbf52af12, v44
	v_fma_f32 v50, v14, s7, -v49
	v_fmac_f32_e32 v49, 0x3f116cb1, v14
	v_add_f32_e32 v15, v49, v15
	v_mul_f32_e32 v49, 0xbf6f5d39, v44
	v_add_f32_e32 v18, v50, v18
	v_fma_f32 v50, v14, s11, -v49
	v_fmac_f32_e32 v49, 0xbeb58ec6, v14
	v_add_f32_e32 v16, v49, v16
	v_mul_f32_e32 v49, 0xbe750f2a, v44
	v_add_f32_e32 v21, v50, v21
	;; [unrolled: 5-line block ×4, first 2 shown]
	v_fma_f32 v50, v14, s6, -v49
	v_fmac_f32_e32 v49, 0x3df6dbef, v14
	v_mul_f32_e32 v44, 0x3eedf032, v44
	v_fmac_f32_e32 v39, v79, v73
	v_add_f32_e32 v27, v49, v27
	v_fma_f32 v49, v14, s10, -v44
	v_fmac_f32_e32 v44, 0x3f62ad3f, v14
	v_add_f32_e32 v13, v44, v13
	v_sub_f32_e32 v44, v37, v39
	v_add_f32_e32 v48, v49, v48
	v_add_f32_e32 v14, v40, v42
	v_mul_f32_e32 v49, 0xbf7e222b, v44
	v_add_f32_e32 v28, v50, v28
	v_fma_f32 v50, v14, s6, -v49
	v_fmac_f32_e32 v49, 0x3df6dbef, v14
	v_add_f32_e32 v15, v49, v15
	v_mul_f32_e32 v49, 0xbe750f2a, v44
	v_add_f32_e32 v18, v50, v18
	v_fma_f32 v50, v14, s13, -v49
	v_fmac_f32_e32 v49, 0xbf788fa5, v14
	;; [unrolled: 5-line block ×5, first 2 shown]
	v_mul_f32_e32 v44, 0xbf29c268, v44
	v_add_f32_e32 v27, v49, v27
	v_fma_f32 v49, v14, s12, -v44
	v_fmac_f32_e32 v44, 0xbf3f9e67, v14
	v_add_f32_e32 v13, v44, v13
	v_sub_f32_e32 v44, v33, v34
	v_add_f32_e32 v48, v49, v48
	v_add_f32_e32 v14, v35, v36
	v_mul_f32_e32 v49, 0xbf6f5d39, v44
	v_add_f32_e32 v28, v50, v28
	v_fma_f32 v50, v14, s11, -v49
	v_fmac_f32_e32 v49, 0xbeb58ec6, v14
	v_add_f32_e32 v15, v49, v15
	v_mul_f32_e32 v49, 0x3f29c268, v44
	v_add_f32_e32 v18, v50, v18
	v_fma_f32 v50, v14, s12, -v49
	v_fmac_f32_e32 v49, 0xbf3f9e67, v14
	;; [unrolled: 5-line block ×5, first 2 shown]
	v_mul_f32_e32 v44, 0x3f52af12, v44
	v_add_f32_e32 v27, v49, v27
	v_fma_f32 v49, v14, s7, -v44
	v_fmac_f32_e32 v44, 0x3f116cb1, v14
	v_add_f32_e32 v13, v44, v13
	v_sub_f32_e32 v44, v29, v30
	v_add_f32_e32 v48, v49, v48
	v_add_f32_e32 v14, v31, v32
	v_mul_f32_e32 v49, 0xbf29c268, v44
	v_add_f32_e32 v28, v50, v28
	v_fma_f32 v50, v14, s12, -v49
	v_fmac_f32_e32 v49, 0xbf3f9e67, v14
	v_add_f32_e32 v15, v49, v15
	v_mul_f32_e32 v49, 0x3f7e222b, v44
	v_add_f32_e32 v18, v50, v18
	v_fma_f32 v50, v14, s6, -v49
	v_fmac_f32_e32 v49, 0x3df6dbef, v14
	v_add_f32_e32 v16, v49, v16
	v_mul_f32_e32 v49, 0xbf52af12, v44
	v_add_f32_e32 v21, v50, v21
	v_fma_f32 v50, v14, s7, -v49
	v_add_f32_e32 v50, v50, v7
	v_fmac_f32_e32 v49, 0x3f116cb1, v14
	v_mul_f32_e32 v7, 0x3e750f2a, v44
	v_add_f32_e32 v17, v49, v17
	v_fma_f32 v49, v14, s13, -v7
	v_fmac_f32_e32 v7, 0xbf788fa5, v14
	v_add_f32_e32 v25, v7, v25
	v_mul_f32_e32 v7, 0x3eedf032, v44
	v_add_f32_e32 v26, v49, v26
	v_fma_f32 v49, v14, s10, -v7
	v_fmac_f32_e32 v7, 0x3f62ad3f, v14
	v_add_f32_e32 v27, v7, v27
	v_mul_f32_e32 v7, 0xbf6f5d39, v44
	v_fma_f32 v44, v14, s11, -v7
	v_fmac_f32_e32 v7, 0xbeb58ec6, v14
	v_sub_f32_e32 v51, v11, v23
	v_add_f32_e32 v28, v49, v28
	v_add_f32_e32 v44, v44, v48
	;; [unrolled: 1-line block ×4, first 2 shown]
	v_mul_f32_e32 v7, 0xbe750f2a, v51
	v_fma_f32 v13, v49, s13, -v7
	v_add_f32_e32 v18, v13, v18
	v_mul_f32_e32 v13, 0x3eedf032, v51
	v_fma_f32 v14, v49, s10, -v13
	v_fmac_f32_e32 v13, 0x3f62ad3f, v49
	v_add_f32_e32 v16, v13, v16
	v_mul_f32_e32 v13, 0xbf29c268, v51
	v_fmac_f32_e32 v7, 0xbf788fa5, v49
	v_add_f32_e32 v21, v14, v21
	v_fma_f32 v14, v49, s12, -v13
	v_fmac_f32_e32 v13, 0xbf3f9e67, v49
	v_add_f32_e32 v7, v7, v15
	v_add_f32_e32 v15, v13, v17
	v_mul_f32_e32 v13, 0x3f52af12, v51
	v_add_f32_e32 v50, v14, v50
	v_fma_f32 v14, v49, s7, -v13
	v_fmac_f32_e32 v13, 0x3f116cb1, v49
	v_add_f32_e32 v17, v14, v26
	v_add_f32_e32 v14, v13, v25
	v_mul_f32_e32 v13, 0xbf6f5d39, v51
	v_fma_f32 v25, v49, s11, -v13
	v_fmac_f32_e32 v13, 0xbeb58ec6, v49
	v_mul_f32_e32 v26, 0x3f7e222b, v51
	v_add_f32_e32 v13, v13, v27
	v_fma_f32 v27, v49, s6, -v26
	v_add_f32_e32 v27, v27, v44
	v_mov_b32_e32 v44, 2
	v_add_f32_e32 v25, v25, v28
	v_mul_u32_u24_e32 v28, 0x374, v81
	v_lshlrev_b32_sdwa v44, v44, v82 dst_sel:DWORD dst_unused:UNUSED_PAD src0_sel:DWORD src1_sel:BYTE_0
	v_fmac_f32_e32 v26, 0x3df6dbef, v49
	v_add3_u32 v44, 0, v28, v44
	v_add_f32_e32 v26, v26, v48
	ds_write2_b32 v44, v22, v18 offset1:17
	ds_write2_b32 v44, v21, v50 offset0:34 offset1:51
	ds_write2_b32 v44, v17, v25 offset0:68 offset1:85
	;; [unrolled: 1-line block ×5, first 2 shown]
	ds_write_b32 v44, v7 offset:816
	v_add_u32_e32 v48, 0x680, v38
	v_add_u32_e32 v49, 0xd80, v38
	;; [unrolled: 1-line block ×3, first 2 shown]
	s_waitcnt lgkmcnt(0)
	s_barrier
	ds_read2_b32 v[17:18], v38 offset1:221
	ds_read2_b32 v[25:26], v48 offset0:26 offset1:247
	ds_read2_b32 v[21:22], v49 offset0:20 offset1:241
	;; [unrolled: 1-line block ×3, first 2 shown]
	s_and_saveexec_b64 s[4:5], s[0:1]
	s_cbranch_execz .LBB0_17
; %bb.16:
	v_add_u32_e32 v5, 0x200, v38
	ds_read2_b32 v[13:14], v5 offset0:8 offset1:229
	v_add_u32_e32 v5, 0x900, v38
	ds_read2_b32 v[15:16], v5 offset0:2 offset1:223
	;; [unrolled: 2-line block ×4, first 2 shown]
.LBB0_17:
	s_or_b64 exec, exec, s[4:5]
	v_add_f32_e32 v51, v19, v56
	v_add_f32_e32 v51, v51, v41
	;; [unrolled: 1-line block ×10, first 2 shown]
	v_sub_f32_e32 v47, v57, v47
	v_add_f32_e32 v51, v51, v43
	v_mul_f32_e32 v53, 0xbeedf032, v47
	v_mul_f32_e32 v55, 0xbf52af12, v47
	;; [unrolled: 1-line block ×6, first 2 shown]
	v_add_f32_e32 v51, v51, v58
	v_add_f32_e32 v52, v56, v58
	v_mov_b32_e32 v54, v53
	v_mov_b32_e32 v56, v55
	;; [unrolled: 1-line block ×6, first 2 shown]
	v_add_f32_e32 v41, v41, v43
	v_sub_f32_e32 v43, v45, v46
	v_fmac_f32_e32 v54, 0x3f62ad3f, v52
	v_fma_f32 v53, v52, s10, -v53
	v_fmac_f32_e32 v56, 0x3f116cb1, v52
	v_fma_f32 v55, v52, s7, -v55
	;; [unrolled: 2-line block ×6, first 2 shown]
	v_mul_f32_e32 v45, 0xbf52af12, v43
	v_add_f32_e32 v54, v19, v54
	v_add_f32_e32 v53, v19, v53
	;; [unrolled: 1-line block ×12, first 2 shown]
	v_mov_b32_e32 v46, v45
	v_fma_f32 v45, v41, s7, -v45
	v_mul_f32_e32 v47, 0xbf6f5d39, v43
	v_fmac_f32_e32 v46, 0x3f116cb1, v41
	v_add_f32_e32 v45, v45, v53
	v_mov_b32_e32 v52, v47
	v_fma_f32 v47, v41, s11, -v47
	v_mul_f32_e32 v53, 0xbe750f2a, v43
	v_add_f32_e32 v46, v46, v54
	v_fmac_f32_e32 v52, 0xbeb58ec6, v41
	v_add_f32_e32 v47, v47, v55
	v_mov_b32_e32 v54, v53
	v_fma_f32 v53, v41, s13, -v53
	v_mul_f32_e32 v55, 0x3f29c268, v43
	v_add_f32_e32 v52, v52, v56
	v_fmac_f32_e32 v54, 0xbf788fa5, v41
	v_add_f32_e32 v53, v53, v57
	v_mov_b32_e32 v56, v55
	v_fma_f32 v55, v41, s12, -v55
	v_mul_f32_e32 v57, 0x3f7e222b, v43
	v_mul_f32_e32 v43, 0x3eedf032, v43
	v_add_f32_e32 v54, v54, v58
	v_add_f32_e32 v55, v55, v59
	v_mov_b32_e32 v58, v57
	v_mov_b32_e32 v59, v43
	v_add_f32_e32 v37, v37, v39
	v_sub_f32_e32 v39, v40, v42
	v_fmac_f32_e32 v56, 0xbf3f9e67, v41
	v_fmac_f32_e32 v58, 0x3df6dbef, v41
	v_fma_f32 v57, v41, s6, -v57
	v_fmac_f32_e32 v59, 0x3f62ad3f, v41
	v_fma_f32 v41, v41, s10, -v43
	v_mul_f32_e32 v40, 0xbf7e222b, v39
	v_add_f32_e32 v19, v41, v19
	v_mov_b32_e32 v41, v40
	v_fma_f32 v40, v37, s6, -v40
	v_mul_f32_e32 v42, 0xbe750f2a, v39
	v_fmac_f32_e32 v41, 0x3df6dbef, v37
	v_add_f32_e32 v40, v40, v45
	v_mov_b32_e32 v43, v42
	v_fma_f32 v42, v37, s13, -v42
	v_mul_f32_e32 v45, 0x3f6f5d39, v39
	v_add_f32_e32 v41, v41, v46
	v_fmac_f32_e32 v43, 0xbf788fa5, v37
	v_add_f32_e32 v42, v42, v47
	v_mov_b32_e32 v46, v45
	v_fma_f32 v45, v37, s11, -v45
	v_mul_f32_e32 v47, 0x3eedf032, v39
	v_add_f32_e32 v43, v43, v52
	v_fmac_f32_e32 v46, 0xbeb58ec6, v37
	v_add_f32_e32 v45, v45, v53
	v_mov_b32_e32 v52, v47
	v_fma_f32 v47, v37, s10, -v47
	v_mul_f32_e32 v53, 0xbf52af12, v39
	v_mul_f32_e32 v39, 0xbf29c268, v39
	v_add_f32_e32 v46, v46, v54
	v_add_f32_e32 v47, v47, v55
	v_mov_b32_e32 v54, v53
	v_mov_b32_e32 v55, v39
	v_add_f32_e32 v33, v33, v34
	v_sub_f32_e32 v34, v35, v36
	v_fmac_f32_e32 v52, 0x3f62ad3f, v37
	v_fmac_f32_e32 v54, 0x3f116cb1, v37
	v_fma_f32 v53, v37, s7, -v53
	v_fmac_f32_e32 v55, 0xbf3f9e67, v37
	v_fma_f32 v37, v37, s12, -v39
	v_mul_f32_e32 v35, 0xbf6f5d39, v34
	v_add_f32_e32 v19, v37, v19
	v_mov_b32_e32 v36, v35
	v_fma_f32 v35, v33, s11, -v35
	v_mul_f32_e32 v37, 0x3f29c268, v34
	v_fmac_f32_e32 v36, 0xbeb58ec6, v33
	v_add_f32_e32 v35, v35, v40
	v_mov_b32_e32 v39, v37
	v_fma_f32 v37, v33, s12, -v37
	v_mul_f32_e32 v40, 0x3eedf032, v34
	v_add_f32_e32 v36, v36, v41
	v_fmac_f32_e32 v39, 0xbf3f9e67, v33
	v_add_f32_e32 v37, v37, v42
	v_mov_b32_e32 v41, v40
	v_fma_f32 v40, v33, s10, -v40
	v_mul_f32_e32 v42, 0xbf7e222b, v34
	v_add_f32_e32 v39, v39, v43
	v_fmac_f32_e32 v41, 0x3f62ad3f, v33
	v_add_f32_e32 v40, v40, v45
	v_mov_b32_e32 v43, v42
	v_fma_f32 v42, v33, s6, -v42
	v_mul_f32_e32 v45, 0x3e750f2a, v34
	v_mul_f32_e32 v34, 0x3f52af12, v34
	v_add_f32_e32 v41, v41, v46
	v_add_f32_e32 v42, v42, v47
	v_mov_b32_e32 v46, v45
	v_mov_b32_e32 v47, v34
	v_fmac_f32_e32 v43, 0x3df6dbef, v33
	v_fmac_f32_e32 v46, 0xbf788fa5, v33
	v_fma_f32 v45, v33, s13, -v45
	v_fmac_f32_e32 v47, 0x3f116cb1, v33
	v_fma_f32 v33, v33, s7, -v34
	v_add_f32_e32 v29, v29, v30
	v_sub_f32_e32 v30, v31, v32
	v_add_f32_e32 v19, v33, v19
	v_mul_f32_e32 v31, 0xbf29c268, v30
	v_mul_f32_e32 v33, 0x3f7e222b, v30
	v_mov_b32_e32 v32, v31
	v_fma_f32 v31, v29, s12, -v31
	v_mov_b32_e32 v34, v33
	v_fma_f32 v33, v29, s6, -v33
	v_add_f32_e32 v56, v56, v60
	v_fmac_f32_e32 v32, 0xbf3f9e67, v29
	v_add_f32_e32 v31, v31, v35
	v_fmac_f32_e32 v34, 0x3df6dbef, v29
	v_add_f32_e32 v33, v33, v37
	v_mul_f32_e32 v35, 0xbf52af12, v30
	v_mul_f32_e32 v37, 0x3e750f2a, v30
	v_add_f32_e32 v52, v52, v56
	v_add_f32_e32 v32, v32, v36
	;; [unrolled: 1-line block ×3, first 2 shown]
	v_mov_b32_e32 v36, v35
	v_fma_f32 v35, v29, s7, -v35
	v_mov_b32_e32 v39, v37
	v_add_f32_e32 v43, v43, v52
	v_fmac_f32_e32 v36, 0x3f116cb1, v29
	v_add_f32_e32 v35, v35, v40
	v_fmac_f32_e32 v39, 0xbf788fa5, v29
	v_fma_f32 v37, v29, s13, -v37
	v_mul_f32_e32 v40, 0x3eedf032, v30
	v_mul_f32_e32 v30, 0xbf6f5d39, v30
	v_add_f32_e32 v36, v36, v41
	v_add_f32_e32 v39, v39, v43
	;; [unrolled: 1-line block ×3, first 2 shown]
	v_mov_b32_e32 v41, v40
	v_mov_b32_e32 v42, v30
	v_sub_f32_e32 v43, v20, v24
	v_fmac_f32_e32 v41, 0x3f62ad3f, v29
	v_fma_f32 v40, v29, s10, -v40
	v_fmac_f32_e32 v42, 0xbeb58ec6, v29
	v_fma_f32 v29, v29, s11, -v30
	v_add_f32_e32 v30, v11, v23
	v_mul_f32_e32 v11, 0xbe750f2a, v43
	v_add_f32_e32 v29, v29, v19
	v_mov_b32_e32 v19, v11
	v_fmac_f32_e32 v19, 0xbf788fa5, v30
	v_add_f32_e32 v32, v19, v32
	v_mul_f32_e32 v19, 0x3eedf032, v43
	v_mov_b32_e32 v20, v19
	v_fma_f32 v19, v30, s10, -v19
	v_fma_f32 v11, v30, s13, -v11
	v_fmac_f32_e32 v20, 0x3f62ad3f, v30
	v_add_f32_e32 v24, v19, v33
	v_mul_f32_e32 v19, 0xbf29c268, v43
	v_add_f32_e32 v11, v11, v31
	v_add_f32_e32 v31, v20, v34
	v_mov_b32_e32 v20, v19
	v_fma_f32 v19, v30, s12, -v19
	v_fmac_f32_e32 v20, 0xbf3f9e67, v30
	v_add_f32_e32 v23, v19, v35
	v_mul_f32_e32 v19, 0x3f52af12, v43
	v_add_f32_e32 v33, v20, v36
	v_mov_b32_e32 v20, v19
	v_add_f32_e32 v58, v58, v62
	v_fmac_f32_e32 v20, 0x3f116cb1, v30
	v_fma_f32 v19, v30, s7, -v19
	v_add_f32_e32 v57, v57, v61
	v_add_f32_e32 v59, v59, v63
	v_add_f32_e32 v54, v54, v58
	v_add_f32_e32 v34, v20, v39
	v_add_f32_e32 v20, v19, v37
	v_mul_f32_e32 v19, 0xbf6f5d39, v43
	v_mul_f32_e32 v36, 0x3f7e222b, v43
	v_add_f32_e32 v53, v53, v57
	v_add_f32_e32 v55, v55, v59
	;; [unrolled: 1-line block ×3, first 2 shown]
	v_mov_b32_e32 v35, v19
	v_mov_b32_e32 v37, v36
	v_add_f32_e32 v45, v45, v53
	v_add_f32_e32 v47, v47, v55
	;; [unrolled: 1-line block ×3, first 2 shown]
	v_fmac_f32_e32 v35, 0xbeb58ec6, v30
	v_fma_f32 v19, v30, s11, -v19
	v_fmac_f32_e32 v37, 0x3df6dbef, v30
	v_fma_f32 v30, v30, s6, -v36
	v_add_f32_e32 v40, v40, v45
	v_add_f32_e32 v42, v42, v47
	;; [unrolled: 1-line block ×6, first 2 shown]
	s_waitcnt lgkmcnt(0)
	s_barrier
	ds_write2_b32 v44, v51, v32 offset1:17
	ds_write2_b32 v44, v31, v33 offset0:34 offset1:51
	ds_write2_b32 v44, v34, v35 offset0:68 offset1:85
	;; [unrolled: 1-line block ×5, first 2 shown]
	ds_write_b32 v44, v11 offset:816
	s_waitcnt lgkmcnt(0)
	s_barrier
	ds_read2_b32 v[29:30], v38 offset1:221
	ds_read2_b32 v[31:32], v48 offset0:26 offset1:247
	ds_read2_b32 v[35:36], v49 offset0:20 offset1:241
	;; [unrolled: 1-line block ×3, first 2 shown]
	s_and_saveexec_b64 s[4:5], s[0:1]
	s_cbranch_execz .LBB0_19
; %bb.18:
	v_add_u32_e32 v9, 0x200, v38
	ds_read2_b32 v[19:20], v9 offset0:8 offset1:229
	v_add_u32_e32 v9, 0x900, v38
	ds_read2_b32 v[23:24], v9 offset0:2 offset1:223
	;; [unrolled: 2-line block ×4, first 2 shown]
.LBB0_19:
	s_or_b64 exec, exec, s[4:5]
	s_and_saveexec_b64 s[4:5], vcc
	s_cbranch_execz .LBB0_22
; %bb.20:
	v_mul_u32_u24_e32 v37, 7, v0
	v_lshlrev_b32_e32 v51, 3, v37
	global_load_dwordx4 v[37:40], v51, s[8:9] offset:1632
	global_load_dwordx4 v[41:44], v51, s[8:9] offset:1664
	;; [unrolled: 1-line block ×3, first 2 shown]
	global_load_dwordx2 v[49:50], v51, s[8:9] offset:1680
	v_mul_lo_u32 v53, s3, v3
	v_mul_lo_u32 v54, s2, v4
	v_mad_u64_u32 v[3:4], s[2:3], s2, v3, 0
	v_mad_u64_u32 v[51:52], s[2:3], s20, v0, 0
	v_add3_u32 v4, v4, v54, v53
	v_lshlrev_b64 v[3:4], 3, v[3:4]
	v_lshlrev_b64 v[1:2], 3, v[1:2]
	s_waitcnt vmcnt(3) lgkmcnt(2)
	v_mul_f32_e32 v53, v31, v40
	s_waitcnt vmcnt(2) lgkmcnt(0)
	v_mul_f32_e32 v54, v33, v44
	s_waitcnt vmcnt(1)
	v_mul_f32_e32 v55, v21, v48
	v_mul_f32_e32 v56, v30, v38
	v_mul_f32_e32 v57, v36, v42
	v_mul_f32_e32 v58, v26, v46
	s_waitcnt vmcnt(0)
	v_mul_f32_e32 v59, v28, v50
	v_mul_f32_e32 v46, v32, v46
	;; [unrolled: 1-line block ×8, first 2 shown]
	v_fma_f32 v25, v25, v39, -v53
	v_fma_f32 v27, v27, v43, -v54
	v_fmac_f32_e32 v55, v35, v47
	v_fma_f32 v18, v18, v37, -v56
	v_fma_f32 v22, v22, v41, -v57
	v_fmac_f32_e32 v58, v32, v45
	v_fmac_f32_e32 v59, v34, v49
	v_fma_f32 v26, v26, v45, -v46
	v_fma_f32 v28, v28, v49, -v50
	v_fmac_f32_e32 v38, v30, v37
	v_fmac_f32_e32 v42, v36, v41
	v_fma_f32 v21, v21, v47, -v48
	v_fmac_f32_e32 v40, v31, v39
	v_fmac_f32_e32 v44, v33, v43
	v_sub_f32_e32 v27, v25, v27
	v_sub_f32_e32 v30, v29, v55
	;; [unrolled: 1-line block ×8, first 2 shown]
	v_add_f32_e32 v34, v27, v30
	v_add_f32_e32 v36, v32, v28
	v_sub_f32_e32 v37, v21, v33
	v_fma_f32 v29, v29, 2.0, -v30
	v_fma_f32 v33, v40, 2.0, -v33
	;; [unrolled: 1-line block ×8, first 2 shown]
	v_mov_b32_e32 v18, v34
	v_fma_f32 v38, v30, 2.0, -v34
	v_sub_f32_e32 v35, v22, v31
	v_mov_b32_e32 v17, v37
	v_sub_f32_e32 v31, v29, v33
	v_sub_f32_e32 v41, v39, v26
	;; [unrolled: 1-line block ×4, first 2 shown]
	v_fma_f32 v32, v32, 2.0, -v36
	v_fma_f32 v43, v21, 2.0, -v37
	v_fmac_f32_e32 v18, 0x3f3504f3, v36
	v_mov_b32_e32 v26, v38
	v_fma_f32 v42, v22, 2.0, -v35
	v_fmac_f32_e32 v17, 0x3f3504f3, v35
	v_sub_f32_e32 v21, v33, v28
	v_mov_b32_e32 v25, v43
	v_fma_f32 v44, v29, 2.0, -v31
	v_fma_f32 v45, v27, 2.0, -v28
	v_fmac_f32_e32 v18, 0x3f3504f3, v35
	v_fmac_f32_e32 v26, 0xbf3504f3, v32
	;; [unrolled: 1-line block ×3, first 2 shown]
	v_fma_f32 v27, v33, 2.0, -v21
	v_fmac_f32_e32 v25, 0xbf3504f3, v42
	v_fma_f32 v30, v34, 2.0, -v18
	v_fmac_f32_e32 v26, 0x3f3504f3, v42
	v_sub_f32_e32 v34, v44, v45
	v_fma_f32 v35, v40, 2.0, -v33
	v_mov_b32_e32 v33, v52
	v_fma_f32 v29, v37, 2.0, -v17
	v_fmac_f32_e32 v25, 0xbf3504f3, v32
	v_fma_f32 v32, v38, 2.0, -v26
	v_mad_u64_u32 v[37:38], s[2:3], s21, v0, v[33:34]
	v_add_co_u32_e32 v38, vcc, s14, v3
	v_mov_b32_e32 v52, v37
	v_mov_b32_e32 v37, s15
	v_addc_co_u32_e32 v37, vcc, v37, v4, vcc
	v_add_co_u32_e32 v1, vcc, v38, v1
	v_fma_f32 v33, v39, 2.0, -v41
	v_add_u32_e32 v39, 0xdd, v0
	v_addc_co_u32_e32 v2, vcc, v37, v2, vcc
	v_lshlrev_b64 v[37:38], 3, v[51:52]
	v_mad_u64_u32 v[3:4], s[2:3], s20, v39, 0
	v_sub_f32_e32 v33, v35, v33
	v_add_co_u32_e32 v37, vcc, v1, v37
	v_fma_f32 v36, v44, 2.0, -v34
	v_fma_f32 v35, v35, 2.0, -v33
	v_addc_co_u32_e32 v38, vcc, v2, v38, vcc
	global_store_dwordx2 v[37:38], v[35:36], off
	v_add_u32_e32 v37, 0x1ba, v0
	v_mad_u64_u32 v[39:40], s[2:3], s21, v39, v[4:5]
	v_mad_u64_u32 v[35:36], s[2:3], s20, v37, 0
	v_mov_b32_e32 v4, v39
	v_add_u32_e32 v39, 0x297, v0
	v_mad_u64_u32 v[36:37], s[2:3], s21, v37, v[36:37]
	v_lshlrev_b64 v[3:4], 3, v[3:4]
	v_mad_u64_u32 v[37:38], s[2:3], s20, v39, 0
	v_add_f32_e32 v22, v31, v41
	v_add_co_u32_e32 v3, vcc, v1, v3
	v_fma_f32 v28, v31, 2.0, -v22
	v_fma_f32 v31, v43, 2.0, -v25
	v_addc_co_u32_e32 v4, vcc, v2, v4, vcc
	global_store_dwordx2 v[3:4], v[31:32], off
	v_mov_b32_e32 v31, v38
	v_mad_u64_u32 v[31:32], s[2:3], s21, v39, v[31:32]
	v_lshlrev_b64 v[3:4], 3, v[35:36]
	v_add_co_u32_e32 v3, vcc, v1, v3
	v_addc_co_u32_e32 v4, vcc, v2, v4, vcc
	v_mov_b32_e32 v38, v31
	v_add_u32_e32 v31, 0x374, v0
	global_store_dwordx2 v[3:4], v[27:28], off
	v_mad_u64_u32 v[27:28], s[2:3], s20, v31, 0
	v_lshlrev_b64 v[3:4], 3, v[37:38]
	v_mad_u64_u32 v[31:32], s[2:3], s21, v31, v[28:29]
	v_add_u32_e32 v32, 0x451, v0
	v_mad_u64_u32 v[35:36], s[2:3], s20, v32, 0
	v_add_co_u32_e32 v3, vcc, v1, v3
	v_addc_co_u32_e32 v4, vcc, v2, v4, vcc
	v_mov_b32_e32 v28, v31
	global_store_dwordx2 v[3:4], v[29:30], off
	v_lshlrev_b64 v[3:4], 3, v[27:28]
	v_mov_b32_e32 v27, v36
	v_mad_u64_u32 v[27:28], s[2:3], s21, v32, v[27:28]
	v_add_u32_e32 v29, 0x52e, v0
	v_add_co_u32_e32 v3, vcc, v1, v3
	v_mov_b32_e32 v36, v27
	v_mad_u64_u32 v[27:28], s[2:3], s20, v29, 0
	v_addc_co_u32_e32 v4, vcc, v2, v4, vcc
	v_mad_u64_u32 v[28:29], s[2:3], s21, v29, v[28:29]
	v_add_u32_e32 v31, 0x60b, v0
	global_store_dwordx2 v[3:4], v[33:34], off
	v_lshlrev_b64 v[3:4], 3, v[35:36]
	v_mad_u64_u32 v[29:30], s[2:3], s20, v31, 0
	v_add_co_u32_e32 v3, vcc, v1, v3
	v_addc_co_u32_e32 v4, vcc, v2, v4, vcc
	global_store_dwordx2 v[3:4], v[25:26], off
	v_mov_b32_e32 v25, v30
	v_mad_u64_u32 v[25:26], s[2:3], s21, v31, v[25:26]
	v_lshlrev_b64 v[3:4], 3, v[27:28]
	v_add_co_u32_e32 v3, vcc, v1, v3
	v_addc_co_u32_e32 v4, vcc, v2, v4, vcc
	v_mov_b32_e32 v30, v25
	global_store_dwordx2 v[3:4], v[21:22], off
	v_lshlrev_b64 v[3:4], 3, v[29:30]
	v_add_co_u32_e32 v3, vcc, v1, v3
	v_addc_co_u32_e32 v4, vcc, v2, v4, vcc
	global_store_dwordx2 v[3:4], v[17:18], off
	s_and_b64 exec, exec, s[0:1]
	s_cbranch_execz .LBB0_22
; %bb.21:
	v_add_u32_e32 v21, 0x88, v0
	v_add_u32_e32 v3, 0xffffffab, v0
	v_cndmask_b32_e64 v3, v3, v21, s[0:1]
	v_mul_i32_i24_e32 v3, 7, v3
	v_mov_b32_e32 v4, 0
	v_lshlrev_b64 v[3:4], 3, v[3:4]
	v_mov_b32_e32 v17, s9
	v_add_co_u32_e32 v3, vcc, s8, v3
	v_addc_co_u32_e32 v4, vcc, v17, v4, vcc
	global_load_dwordx4 v[25:28], v[3:4], off offset:1632
	global_load_dwordx4 v[29:32], v[3:4], off offset:1648
	;; [unrolled: 1-line block ×3, first 2 shown]
	global_load_dwordx2 v[17:18], v[3:4], off offset:1680
	s_waitcnt vmcnt(3)
	v_mul_f32_e32 v3, v20, v26
	v_mul_f32_e32 v4, v14, v26
	;; [unrolled: 1-line block ×4, first 2 shown]
	s_waitcnt vmcnt(2)
	v_mul_f32_e32 v37, v11, v32
	v_mul_f32_e32 v32, v7, v32
	s_waitcnt vmcnt(1)
	v_mul_f32_e32 v39, v9, v36
	v_mul_f32_e32 v36, v5, v36
	v_mul_f32_e32 v28, v24, v30
	v_mul_f32_e32 v30, v16, v30
	v_mul_f32_e32 v38, v12, v34
	v_mul_f32_e32 v34, v8, v34
	s_waitcnt vmcnt(0)
	v_mul_f32_e32 v40, v10, v18
	v_mul_f32_e32 v18, v6, v18
	v_fma_f32 v3, v14, v25, -v3
	v_fma_f32 v14, v15, v27, -v22
	v_fmac_f32_e32 v26, v23, v27
	v_fma_f32 v7, v7, v31, -v37
	v_fmac_f32_e32 v32, v11, v31
	v_fma_f32 v5, v5, v35, -v39
	v_fmac_f32_e32 v36, v9, v35
	v_fmac_f32_e32 v4, v20, v25
	v_fma_f32 v15, v16, v29, -v28
	v_fmac_f32_e32 v30, v24, v29
	v_fma_f32 v8, v8, v33, -v38
	;; [unrolled: 2-line block ×3, first 2 shown]
	v_fmac_f32_e32 v18, v10, v17
	v_sub_f32_e32 v7, v13, v7
	v_sub_f32_e32 v9, v19, v32
	;; [unrolled: 1-line block ×8, first 2 shown]
	v_fma_f32 v13, v13, 2.0, -v7
	v_fma_f32 v16, v19, 2.0, -v9
	;; [unrolled: 1-line block ×4, first 2 shown]
	v_add_f32_e32 v24, v9, v5
	v_fma_f32 v18, v3, 2.0, -v8
	v_fma_f32 v19, v4, 2.0, -v11
	;; [unrolled: 1-line block ×4, first 2 shown]
	v_sub_f32_e32 v20, v7, v10
	v_sub_f32_e32 v22, v8, v12
	v_add_f32_e32 v23, v11, v6
	v_sub_f32_e32 v12, v13, v14
	v_sub_f32_e32 v14, v16, v17
	v_fma_f32 v17, v9, 2.0, -v24
	v_fma_f32 v15, v7, 2.0, -v20
	v_sub_f32_e32 v9, v18, v3
	v_sub_f32_e32 v7, v19, v4
	v_fma_f32 v26, v11, 2.0, -v23
	v_mov_b32_e32 v6, v17
	v_fma_f32 v25, v8, 2.0, -v22
	v_fma_f32 v13, v13, 2.0, -v12
	;; [unrolled: 1-line block ×5, first 2 shown]
	v_fmac_f32_e32 v6, 0xbf3504f3, v26
	v_sub_f32_e32 v7, v12, v7
	v_add_f32_e32 v8, v14, v9
	v_sub_f32_e32 v9, v13, v10
	v_sub_f32_e32 v10, v16, v11
	v_fmac_f32_e32 v6, 0x3f3504f3, v25
	v_mov_b32_e32 v3, v20
	v_fma_f32 v11, v12, 2.0, -v7
	v_fma_f32 v12, v14, 2.0, -v8
	;; [unrolled: 1-line block ×4, first 2 shown]
	v_mad_u64_u32 v[17:18], s[0:1], s20, v21, 0
	v_fmac_f32_e32 v3, 0x3f3504f3, v22
	v_mov_b32_e32 v4, v24
	v_fmac_f32_e32 v3, 0xbf3504f3, v23
	v_fmac_f32_e32 v4, 0x3f3504f3, v23
	v_fma_f32 v19, v20, 2.0, -v3
	v_fmac_f32_e32 v4, 0x3f3504f3, v22
	v_mad_u64_u32 v[21:22], s[0:1], s21, v21, v[18:19]
	v_mov_b32_e32 v5, v15
	v_fmac_f32_e32 v5, 0xbf3504f3, v25
	v_add_u32_e32 v25, 0x165, v0
	v_mad_u64_u32 v[22:23], s[0:1], s20, v25, 0
	v_mov_b32_e32 v18, v21
	v_lshlrev_b64 v[17:18], 3, v[17:18]
	v_mov_b32_e32 v21, v23
	v_add_co_u32_e32 v17, vcc, v1, v17
	v_fma_f32 v13, v13, 2.0, -v9
	v_fma_f32 v20, v24, 2.0, -v4
	v_mad_u64_u32 v[23:24], s[0:1], s21, v25, v[21:22]
	v_addc_co_u32_e32 v18, vcc, v2, v18, vcc
	v_add_u32_e32 v21, 0x242, v0
	global_store_dwordx2 v[17:18], v[13:14], off
	v_mad_u64_u32 v[17:18], s[0:1], s20, v21, 0
	v_lshlrev_b64 v[13:14], 3, v[22:23]
	v_add_u32_e32 v24, 0x31f, v0
	v_mad_u64_u32 v[21:22], s[0:1], s21, v21, v[18:19]
	v_mad_u64_u32 v[22:23], s[0:1], s20, v24, 0
	v_fmac_f32_e32 v5, 0xbf3504f3, v26
	v_add_co_u32_e32 v13, vcc, v1, v13
	v_fma_f32 v15, v15, 2.0, -v5
	v_addc_co_u32_e32 v14, vcc, v2, v14, vcc
	global_store_dwordx2 v[13:14], v[15:16], off
	v_mov_b32_e32 v15, v23
	v_mov_b32_e32 v18, v21
	v_mad_u64_u32 v[15:16], s[0:1], s21, v24, v[15:16]
	v_lshlrev_b64 v[13:14], 3, v[17:18]
	v_add_u32_e32 v17, 0x4d9, v0
	v_add_co_u32_e32 v13, vcc, v1, v13
	v_addc_co_u32_e32 v14, vcc, v2, v14, vcc
	v_mov_b32_e32 v23, v15
	v_add_u32_e32 v15, 0x3fc, v0
	global_store_dwordx2 v[13:14], v[11:12], off
	v_mad_u64_u32 v[13:14], s[0:1], s20, v15, 0
	v_lshlrev_b64 v[11:12], 3, v[22:23]
	v_mad_u64_u32 v[14:15], s[0:1], s21, v15, v[14:15]
	v_mad_u64_u32 v[15:16], s[0:1], s20, v17, 0
	v_add_co_u32_e32 v11, vcc, v1, v11
	v_addc_co_u32_e32 v12, vcc, v2, v12, vcc
	global_store_dwordx2 v[11:12], v[19:20], off
	v_lshlrev_b64 v[11:12], 3, v[13:14]
	v_mov_b32_e32 v13, v16
	v_mad_u64_u32 v[13:14], s[0:1], s21, v17, v[13:14]
	v_add_co_u32_e32 v11, vcc, v1, v11
	v_addc_co_u32_e32 v12, vcc, v2, v12, vcc
	v_mov_b32_e32 v16, v13
	v_add_u32_e32 v13, 0x5b6, v0
	global_store_dwordx2 v[11:12], v[9:10], off
	v_mad_u64_u32 v[11:12], s[0:1], s20, v13, 0
	v_lshlrev_b64 v[9:10], 3, v[15:16]
	v_add_u32_e32 v15, 0x693, v0
	v_mad_u64_u32 v[12:13], s[0:1], s21, v13, v[12:13]
	v_mad_u64_u32 v[13:14], s[0:1], s20, v15, 0
	v_add_co_u32_e32 v9, vcc, v1, v9
	v_addc_co_u32_e32 v10, vcc, v2, v10, vcc
	v_mov_b32_e32 v0, v14
	global_store_dwordx2 v[9:10], v[5:6], off
	v_mad_u64_u32 v[9:10], s[0:1], s21, v15, v[0:1]
	v_lshlrev_b64 v[5:6], 3, v[11:12]
	v_add_co_u32_e32 v5, vcc, v1, v5
	v_addc_co_u32_e32 v6, vcc, v2, v6, vcc
	v_mov_b32_e32 v14, v9
	global_store_dwordx2 v[5:6], v[7:8], off
	v_lshlrev_b64 v[5:6], 3, v[13:14]
	v_add_co_u32_e32 v0, vcc, v1, v5
	v_addc_co_u32_e32 v1, vcc, v2, v6, vcc
	global_store_dwordx2 v[0:1], v[3:4], off
.LBB0_22:
	s_endpgm
	.section	.rodata,"a",@progbits
	.p2align	6, 0x0
	.amdhsa_kernel fft_rtc_fwd_len1768_factors_17_13_8_wgs_136_tpt_136_halfLds_sp_op_CI_CI_sbrr_dirReg
		.amdhsa_group_segment_fixed_size 0
		.amdhsa_private_segment_fixed_size 0
		.amdhsa_kernarg_size 104
		.amdhsa_user_sgpr_count 6
		.amdhsa_user_sgpr_private_segment_buffer 1
		.amdhsa_user_sgpr_dispatch_ptr 0
		.amdhsa_user_sgpr_queue_ptr 0
		.amdhsa_user_sgpr_kernarg_segment_ptr 1
		.amdhsa_user_sgpr_dispatch_id 0
		.amdhsa_user_sgpr_flat_scratch_init 0
		.amdhsa_user_sgpr_private_segment_size 0
		.amdhsa_uses_dynamic_stack 0
		.amdhsa_system_sgpr_private_segment_wavefront_offset 0
		.amdhsa_system_sgpr_workgroup_id_x 1
		.amdhsa_system_sgpr_workgroup_id_y 0
		.amdhsa_system_sgpr_workgroup_id_z 0
		.amdhsa_system_sgpr_workgroup_info 0
		.amdhsa_system_vgpr_workitem_id 0
		.amdhsa_next_free_vgpr 111
		.amdhsa_next_free_sgpr 32
		.amdhsa_reserve_vcc 1
		.amdhsa_reserve_flat_scratch 0
		.amdhsa_float_round_mode_32 0
		.amdhsa_float_round_mode_16_64 0
		.amdhsa_float_denorm_mode_32 3
		.amdhsa_float_denorm_mode_16_64 3
		.amdhsa_dx10_clamp 1
		.amdhsa_ieee_mode 1
		.amdhsa_fp16_overflow 0
		.amdhsa_exception_fp_ieee_invalid_op 0
		.amdhsa_exception_fp_denorm_src 0
		.amdhsa_exception_fp_ieee_div_zero 0
		.amdhsa_exception_fp_ieee_overflow 0
		.amdhsa_exception_fp_ieee_underflow 0
		.amdhsa_exception_fp_ieee_inexact 0
		.amdhsa_exception_int_div_zero 0
	.end_amdhsa_kernel
	.text
.Lfunc_end0:
	.size	fft_rtc_fwd_len1768_factors_17_13_8_wgs_136_tpt_136_halfLds_sp_op_CI_CI_sbrr_dirReg, .Lfunc_end0-fft_rtc_fwd_len1768_factors_17_13_8_wgs_136_tpt_136_halfLds_sp_op_CI_CI_sbrr_dirReg
                                        ; -- End function
	.section	.AMDGPU.csdata,"",@progbits
; Kernel info:
; codeLenInByte = 13188
; NumSgprs: 36
; NumVgprs: 111
; ScratchSize: 0
; MemoryBound: 0
; FloatMode: 240
; IeeeMode: 1
; LDSByteSize: 0 bytes/workgroup (compile time only)
; SGPRBlocks: 4
; VGPRBlocks: 27
; NumSGPRsForWavesPerEU: 36
; NumVGPRsForWavesPerEU: 111
; Occupancy: 2
; WaveLimiterHint : 1
; COMPUTE_PGM_RSRC2:SCRATCH_EN: 0
; COMPUTE_PGM_RSRC2:USER_SGPR: 6
; COMPUTE_PGM_RSRC2:TRAP_HANDLER: 0
; COMPUTE_PGM_RSRC2:TGID_X_EN: 1
; COMPUTE_PGM_RSRC2:TGID_Y_EN: 0
; COMPUTE_PGM_RSRC2:TGID_Z_EN: 0
; COMPUTE_PGM_RSRC2:TIDIG_COMP_CNT: 0
	.type	__hip_cuid_2c29402b3b1265ad,@object ; @__hip_cuid_2c29402b3b1265ad
	.section	.bss,"aw",@nobits
	.globl	__hip_cuid_2c29402b3b1265ad
__hip_cuid_2c29402b3b1265ad:
	.byte	0                               ; 0x0
	.size	__hip_cuid_2c29402b3b1265ad, 1

	.ident	"AMD clang version 19.0.0git (https://github.com/RadeonOpenCompute/llvm-project roc-6.4.0 25133 c7fe45cf4b819c5991fe208aaa96edf142730f1d)"
	.section	".note.GNU-stack","",@progbits
	.addrsig
	.addrsig_sym __hip_cuid_2c29402b3b1265ad
	.amdgpu_metadata
---
amdhsa.kernels:
  - .args:
      - .actual_access:  read_only
        .address_space:  global
        .offset:         0
        .size:           8
        .value_kind:     global_buffer
      - .offset:         8
        .size:           8
        .value_kind:     by_value
      - .actual_access:  read_only
        .address_space:  global
        .offset:         16
        .size:           8
        .value_kind:     global_buffer
      - .actual_access:  read_only
        .address_space:  global
        .offset:         24
        .size:           8
        .value_kind:     global_buffer
      - .actual_access:  read_only
        .address_space:  global
        .offset:         32
        .size:           8
        .value_kind:     global_buffer
      - .offset:         40
        .size:           8
        .value_kind:     by_value
      - .actual_access:  read_only
        .address_space:  global
        .offset:         48
        .size:           8
        .value_kind:     global_buffer
      - .actual_access:  read_only
        .address_space:  global
        .offset:         56
        .size:           8
        .value_kind:     global_buffer
      - .offset:         64
        .size:           4
        .value_kind:     by_value
      - .actual_access:  read_only
        .address_space:  global
        .offset:         72
        .size:           8
        .value_kind:     global_buffer
      - .actual_access:  read_only
        .address_space:  global
        .offset:         80
        .size:           8
        .value_kind:     global_buffer
      - .actual_access:  read_only
        .address_space:  global
        .offset:         88
        .size:           8
        .value_kind:     global_buffer
      - .actual_access:  write_only
        .address_space:  global
        .offset:         96
        .size:           8
        .value_kind:     global_buffer
    .group_segment_fixed_size: 0
    .kernarg_segment_align: 8
    .kernarg_segment_size: 104
    .language:       OpenCL C
    .language_version:
      - 2
      - 0
    .max_flat_workgroup_size: 136
    .name:           fft_rtc_fwd_len1768_factors_17_13_8_wgs_136_tpt_136_halfLds_sp_op_CI_CI_sbrr_dirReg
    .private_segment_fixed_size: 0
    .sgpr_count:     36
    .sgpr_spill_count: 0
    .symbol:         fft_rtc_fwd_len1768_factors_17_13_8_wgs_136_tpt_136_halfLds_sp_op_CI_CI_sbrr_dirReg.kd
    .uniform_work_group_size: 1
    .uses_dynamic_stack: false
    .vgpr_count:     111
    .vgpr_spill_count: 0
    .wavefront_size: 64
amdhsa.target:   amdgcn-amd-amdhsa--gfx906
amdhsa.version:
  - 1
  - 2
...

	.end_amdgpu_metadata
